;; amdgpu-corpus repo=ROCm/rocFFT kind=compiled arch=gfx1201 opt=O3
	.text
	.amdgcn_target "amdgcn-amd-amdhsa--gfx1201"
	.amdhsa_code_object_version 6
	.protected	fft_rtc_fwd_len450_factors_10_5_3_3_wgs_120_tpt_30_halfLds_sp_ip_CI_unitstride_sbrr_R2C_dirReg ; -- Begin function fft_rtc_fwd_len450_factors_10_5_3_3_wgs_120_tpt_30_halfLds_sp_ip_CI_unitstride_sbrr_R2C_dirReg
	.globl	fft_rtc_fwd_len450_factors_10_5_3_3_wgs_120_tpt_30_halfLds_sp_ip_CI_unitstride_sbrr_R2C_dirReg
	.p2align	8
	.type	fft_rtc_fwd_len450_factors_10_5_3_3_wgs_120_tpt_30_halfLds_sp_ip_CI_unitstride_sbrr_R2C_dirReg,@function
fft_rtc_fwd_len450_factors_10_5_3_3_wgs_120_tpt_30_halfLds_sp_ip_CI_unitstride_sbrr_R2C_dirReg: ; @fft_rtc_fwd_len450_factors_10_5_3_3_wgs_120_tpt_30_halfLds_sp_ip_CI_unitstride_sbrr_R2C_dirReg
; %bb.0:
	s_clause 0x2
	s_load_b128 s[4:7], s[0:1], 0x0
	s_load_b64 s[8:9], s[0:1], 0x50
	s_load_b64 s[10:11], s[0:1], 0x18
	v_mul_u32_u24_e32 v1, 0x889, v0
	v_mov_b32_e32 v3, 0
	s_delay_alu instid0(VALU_DEP_2) | instskip(SKIP_2) | instid1(VALU_DEP_4)
	v_lshrrev_b32_e32 v9, 16, v1
	v_mov_b32_e32 v1, 0
	v_mov_b32_e32 v2, 0
	;; [unrolled: 1-line block ×3, first 2 shown]
	s_delay_alu instid0(VALU_DEP_4) | instskip(SKIP_2) | instid1(VALU_DEP_1)
	v_lshl_add_u32 v5, ttmp9, 2, v9
	s_wait_kmcnt 0x0
	v_cmp_lt_u64_e64 s2, s[6:7], 2
	s_and_b32 vcc_lo, exec_lo, s2
	s_cbranch_vccnz .LBB0_8
; %bb.1:
	s_load_b64 s[2:3], s[0:1], 0x10
	v_mov_b32_e32 v1, 0
	v_mov_b32_e32 v2, 0
	s_add_nc_u64 s[12:13], s[10:11], 8
	s_mov_b64 s[14:15], 1
	s_wait_kmcnt 0x0
	s_add_nc_u64 s[16:17], s[2:3], 8
	s_mov_b32 s3, 0
.LBB0_2:                                ; =>This Inner Loop Header: Depth=1
	s_load_b64 s[18:19], s[16:17], 0x0
                                        ; implicit-def: $vgpr7_vgpr8
	s_mov_b32 s2, exec_lo
	s_wait_kmcnt 0x0
	v_or_b32_e32 v4, s19, v6
	s_delay_alu instid0(VALU_DEP_1)
	v_cmpx_ne_u64_e32 0, v[3:4]
	s_wait_alu 0xfffe
	s_xor_b32 s20, exec_lo, s2
	s_cbranch_execz .LBB0_4
; %bb.3:                                ;   in Loop: Header=BB0_2 Depth=1
	s_cvt_f32_u32 s2, s18
	s_cvt_f32_u32 s21, s19
	s_sub_nc_u64 s[24:25], 0, s[18:19]
	s_wait_alu 0xfffe
	s_delay_alu instid0(SALU_CYCLE_1) | instskip(SKIP_1) | instid1(SALU_CYCLE_2)
	s_fmamk_f32 s2, s21, 0x4f800000, s2
	s_wait_alu 0xfffe
	v_s_rcp_f32 s2, s2
	s_delay_alu instid0(TRANS32_DEP_1) | instskip(SKIP_1) | instid1(SALU_CYCLE_2)
	s_mul_f32 s2, s2, 0x5f7ffffc
	s_wait_alu 0xfffe
	s_mul_f32 s21, s2, 0x2f800000
	s_wait_alu 0xfffe
	s_delay_alu instid0(SALU_CYCLE_2) | instskip(SKIP_1) | instid1(SALU_CYCLE_2)
	s_trunc_f32 s21, s21
	s_wait_alu 0xfffe
	s_fmamk_f32 s2, s21, 0xcf800000, s2
	s_cvt_u32_f32 s23, s21
	s_wait_alu 0xfffe
	s_delay_alu instid0(SALU_CYCLE_1) | instskip(SKIP_1) | instid1(SALU_CYCLE_2)
	s_cvt_u32_f32 s22, s2
	s_wait_alu 0xfffe
	s_mul_u64 s[26:27], s[24:25], s[22:23]
	s_wait_alu 0xfffe
	s_mul_hi_u32 s29, s22, s27
	s_mul_i32 s28, s22, s27
	s_mul_hi_u32 s2, s22, s26
	s_mul_i32 s30, s23, s26
	s_wait_alu 0xfffe
	s_add_nc_u64 s[28:29], s[2:3], s[28:29]
	s_mul_hi_u32 s21, s23, s26
	s_mul_hi_u32 s31, s23, s27
	s_add_co_u32 s2, s28, s30
	s_wait_alu 0xfffe
	s_add_co_ci_u32 s2, s29, s21
	s_mul_i32 s26, s23, s27
	s_add_co_ci_u32 s27, s31, 0
	s_wait_alu 0xfffe
	s_add_nc_u64 s[26:27], s[2:3], s[26:27]
	s_wait_alu 0xfffe
	v_add_co_u32 v4, s2, s22, s26
	s_delay_alu instid0(VALU_DEP_1) | instskip(SKIP_1) | instid1(VALU_DEP_1)
	s_cmp_lg_u32 s2, 0
	s_add_co_ci_u32 s23, s23, s27
	v_readfirstlane_b32 s22, v4
	s_wait_alu 0xfffe
	s_delay_alu instid0(VALU_DEP_1)
	s_mul_u64 s[24:25], s[24:25], s[22:23]
	s_wait_alu 0xfffe
	s_mul_hi_u32 s27, s22, s25
	s_mul_i32 s26, s22, s25
	s_mul_hi_u32 s2, s22, s24
	s_mul_i32 s28, s23, s24
	s_wait_alu 0xfffe
	s_add_nc_u64 s[26:27], s[2:3], s[26:27]
	s_mul_hi_u32 s21, s23, s24
	s_mul_hi_u32 s22, s23, s25
	s_wait_alu 0xfffe
	s_add_co_u32 s2, s26, s28
	s_add_co_ci_u32 s2, s27, s21
	s_mul_i32 s24, s23, s25
	s_add_co_ci_u32 s25, s22, 0
	s_wait_alu 0xfffe
	s_add_nc_u64 s[24:25], s[2:3], s[24:25]
	s_wait_alu 0xfffe
	v_add_co_u32 v4, s2, v4, s24
	s_delay_alu instid0(VALU_DEP_1) | instskip(SKIP_1) | instid1(VALU_DEP_1)
	s_cmp_lg_u32 s2, 0
	s_add_co_ci_u32 s2, s23, s25
	v_mul_hi_u32 v14, v5, v4
	s_wait_alu 0xfffe
	v_mad_co_u64_u32 v[7:8], null, v5, s2, 0
	v_mad_co_u64_u32 v[10:11], null, v6, v4, 0
	;; [unrolled: 1-line block ×3, first 2 shown]
	s_delay_alu instid0(VALU_DEP_3) | instskip(SKIP_1) | instid1(VALU_DEP_4)
	v_add_co_u32 v4, vcc_lo, v14, v7
	s_wait_alu 0xfffd
	v_add_co_ci_u32_e32 v7, vcc_lo, 0, v8, vcc_lo
	s_delay_alu instid0(VALU_DEP_2) | instskip(SKIP_1) | instid1(VALU_DEP_2)
	v_add_co_u32 v4, vcc_lo, v4, v10
	s_wait_alu 0xfffd
	v_add_co_ci_u32_e32 v4, vcc_lo, v7, v11, vcc_lo
	s_wait_alu 0xfffd
	v_add_co_ci_u32_e32 v7, vcc_lo, 0, v13, vcc_lo
	s_delay_alu instid0(VALU_DEP_2) | instskip(SKIP_1) | instid1(VALU_DEP_2)
	v_add_co_u32 v4, vcc_lo, v4, v12
	s_wait_alu 0xfffd
	v_add_co_ci_u32_e32 v10, vcc_lo, 0, v7, vcc_lo
	s_delay_alu instid0(VALU_DEP_2) | instskip(SKIP_1) | instid1(VALU_DEP_3)
	v_mul_lo_u32 v11, s19, v4
	v_mad_co_u64_u32 v[7:8], null, s18, v4, 0
	v_mul_lo_u32 v12, s18, v10
	s_delay_alu instid0(VALU_DEP_2) | instskip(NEXT) | instid1(VALU_DEP_2)
	v_sub_co_u32 v7, vcc_lo, v5, v7
	v_add3_u32 v8, v8, v12, v11
	s_delay_alu instid0(VALU_DEP_1) | instskip(SKIP_1) | instid1(VALU_DEP_1)
	v_sub_nc_u32_e32 v11, v6, v8
	s_wait_alu 0xfffd
	v_subrev_co_ci_u32_e64 v11, s2, s19, v11, vcc_lo
	v_add_co_u32 v12, s2, v4, 2
	s_wait_alu 0xf1ff
	v_add_co_ci_u32_e64 v13, s2, 0, v10, s2
	v_sub_co_u32 v14, s2, v7, s18
	v_sub_co_ci_u32_e32 v8, vcc_lo, v6, v8, vcc_lo
	s_wait_alu 0xf1ff
	v_subrev_co_ci_u32_e64 v11, s2, 0, v11, s2
	s_delay_alu instid0(VALU_DEP_3) | instskip(NEXT) | instid1(VALU_DEP_3)
	v_cmp_le_u32_e32 vcc_lo, s18, v14
	v_cmp_eq_u32_e64 s2, s19, v8
	s_wait_alu 0xfffd
	v_cndmask_b32_e64 v14, 0, -1, vcc_lo
	v_cmp_le_u32_e32 vcc_lo, s19, v11
	s_wait_alu 0xfffd
	v_cndmask_b32_e64 v15, 0, -1, vcc_lo
	v_cmp_le_u32_e32 vcc_lo, s18, v7
	;; [unrolled: 3-line block ×3, first 2 shown]
	s_wait_alu 0xfffd
	v_cndmask_b32_e64 v16, 0, -1, vcc_lo
	v_cmp_eq_u32_e32 vcc_lo, s19, v11
	s_wait_alu 0xf1ff
	s_delay_alu instid0(VALU_DEP_2)
	v_cndmask_b32_e64 v7, v16, v7, s2
	s_wait_alu 0xfffd
	v_cndmask_b32_e32 v11, v15, v14, vcc_lo
	v_add_co_u32 v14, vcc_lo, v4, 1
	s_wait_alu 0xfffd
	v_add_co_ci_u32_e32 v15, vcc_lo, 0, v10, vcc_lo
	s_delay_alu instid0(VALU_DEP_3) | instskip(SKIP_1) | instid1(VALU_DEP_2)
	v_cmp_ne_u32_e32 vcc_lo, 0, v11
	s_wait_alu 0xfffd
	v_dual_cndmask_b32 v8, v15, v13 :: v_dual_cndmask_b32 v11, v14, v12
	v_cmp_ne_u32_e32 vcc_lo, 0, v7
	s_wait_alu 0xfffd
	s_delay_alu instid0(VALU_DEP_2)
	v_dual_cndmask_b32 v8, v10, v8 :: v_dual_cndmask_b32 v7, v4, v11
.LBB0_4:                                ;   in Loop: Header=BB0_2 Depth=1
	s_wait_alu 0xfffe
	s_and_not1_saveexec_b32 s2, s20
	s_cbranch_execz .LBB0_6
; %bb.5:                                ;   in Loop: Header=BB0_2 Depth=1
	v_cvt_f32_u32_e32 v4, s18
	s_sub_co_i32 s20, 0, s18
	s_delay_alu instid0(VALU_DEP_1) | instskip(NEXT) | instid1(TRANS32_DEP_1)
	v_rcp_iflag_f32_e32 v4, v4
	v_mul_f32_e32 v4, 0x4f7ffffe, v4
	s_delay_alu instid0(VALU_DEP_1) | instskip(SKIP_1) | instid1(VALU_DEP_1)
	v_cvt_u32_f32_e32 v4, v4
	s_wait_alu 0xfffe
	v_mul_lo_u32 v7, s20, v4
	s_delay_alu instid0(VALU_DEP_1) | instskip(NEXT) | instid1(VALU_DEP_1)
	v_mul_hi_u32 v7, v4, v7
	v_add_nc_u32_e32 v4, v4, v7
	s_delay_alu instid0(VALU_DEP_1) | instskip(NEXT) | instid1(VALU_DEP_1)
	v_mul_hi_u32 v4, v5, v4
	v_mul_lo_u32 v7, v4, s18
	v_add_nc_u32_e32 v8, 1, v4
	s_delay_alu instid0(VALU_DEP_2) | instskip(NEXT) | instid1(VALU_DEP_1)
	v_sub_nc_u32_e32 v7, v5, v7
	v_subrev_nc_u32_e32 v10, s18, v7
	v_cmp_le_u32_e32 vcc_lo, s18, v7
	s_wait_alu 0xfffd
	s_delay_alu instid0(VALU_DEP_2) | instskip(NEXT) | instid1(VALU_DEP_1)
	v_dual_cndmask_b32 v7, v7, v10 :: v_dual_cndmask_b32 v4, v4, v8
	v_cmp_le_u32_e32 vcc_lo, s18, v7
	s_delay_alu instid0(VALU_DEP_2) | instskip(SKIP_1) | instid1(VALU_DEP_1)
	v_add_nc_u32_e32 v8, 1, v4
	s_wait_alu 0xfffd
	v_dual_cndmask_b32 v7, v4, v8 :: v_dual_mov_b32 v8, v3
.LBB0_6:                                ;   in Loop: Header=BB0_2 Depth=1
	s_wait_alu 0xfffe
	s_or_b32 exec_lo, exec_lo, s2
	s_load_b64 s[20:21], s[12:13], 0x0
	s_delay_alu instid0(VALU_DEP_1)
	v_mul_lo_u32 v4, v8, s18
	v_mul_lo_u32 v12, v7, s19
	v_mad_co_u64_u32 v[10:11], null, v7, s18, 0
	s_add_nc_u64 s[14:15], s[14:15], 1
	s_add_nc_u64 s[12:13], s[12:13], 8
	s_wait_alu 0xfffe
	v_cmp_ge_u64_e64 s2, s[14:15], s[6:7]
	s_add_nc_u64 s[16:17], s[16:17], 8
	s_delay_alu instid0(VALU_DEP_2) | instskip(NEXT) | instid1(VALU_DEP_3)
	v_add3_u32 v4, v11, v12, v4
	v_sub_co_u32 v5, vcc_lo, v5, v10
	s_wait_alu 0xfffd
	s_delay_alu instid0(VALU_DEP_2) | instskip(SKIP_3) | instid1(VALU_DEP_2)
	v_sub_co_ci_u32_e32 v4, vcc_lo, v6, v4, vcc_lo
	s_and_b32 vcc_lo, exec_lo, s2
	s_wait_kmcnt 0x0
	v_mul_lo_u32 v6, s21, v5
	v_mul_lo_u32 v4, s20, v4
	v_mad_co_u64_u32 v[1:2], null, s20, v5, v[1:2]
	s_delay_alu instid0(VALU_DEP_1)
	v_add3_u32 v2, v6, v2, v4
	s_wait_alu 0xfffe
	s_cbranch_vccnz .LBB0_9
; %bb.7:                                ;   in Loop: Header=BB0_2 Depth=1
	v_dual_mov_b32 v5, v7 :: v_dual_mov_b32 v6, v8
	s_branch .LBB0_2
.LBB0_8:
	v_dual_mov_b32 v8, v6 :: v_dual_mov_b32 v7, v5
.LBB0_9:
	s_lshl_b64 s[2:3], s[6:7], 3
	v_mul_hi_u32 v3, 0x8888889, v0
	s_wait_alu 0xfffe
	s_add_nc_u64 s[2:3], s[10:11], s[2:3]
	s_load_b64 s[2:3], s[2:3], 0x0
	s_load_b64 s[0:1], s[0:1], 0x20
	s_delay_alu instid0(VALU_DEP_1) | instskip(NEXT) | instid1(VALU_DEP_1)
	v_mul_u32_u24_e32 v3, 30, v3
	v_sub_nc_u32_e32 v36, v0, v3
	v_and_b32_e32 v0, 3, v9
	s_delay_alu instid0(VALU_DEP_2)
	v_add_nc_u32_e32 v40, 30, v36
	s_wait_kmcnt 0x0
	v_mul_lo_u32 v4, s2, v8
	v_mul_lo_u32 v5, s3, v7
	v_mad_co_u64_u32 v[1:2], null, s2, v7, v[1:2]
	v_cmp_gt_u64_e32 vcc_lo, s[0:1], v[7:8]
	v_cmp_le_u64_e64 s0, s[0:1], v[7:8]
	s_delay_alu instid0(VALU_DEP_3) | instskip(NEXT) | instid1(VALU_DEP_2)
	v_add3_u32 v2, v5, v2, v4
	s_and_saveexec_b32 s1, s0
	s_wait_alu 0xfffe
	s_xor_b32 s0, exec_lo, s1
; %bb.10:
	v_add_nc_u32_e32 v40, 30, v36
; %bb.11:
	s_wait_alu 0xfffe
	s_or_saveexec_b32 s1, s0
	v_mul_u32_u24_e32 v0, 0x1c3, v0
	v_lshlrev_b64_e32 v[38:39], 3, v[1:2]
	v_lshlrev_b32_e32 v45, 3, v36
	s_delay_alu instid0(VALU_DEP_3)
	v_lshlrev_b32_e32 v48, 3, v0
	s_wait_alu 0xfffe
	s_xor_b32 exec_lo, exec_lo, s1
	s_cbranch_execz .LBB0_13
; %bb.12:
	s_delay_alu instid0(VALU_DEP_1)
	v_add3_u32 v30, 0, v48, v45
	v_mov_b32_e32 v37, 0
	v_add_co_u32 v2, s0, s8, v38
	s_wait_alu 0xf1ff
	v_add_co_ci_u32_e64 v3, s0, s9, v39, s0
	v_add_nc_u32_e32 v32, 0x800, v30
	v_lshlrev_b64_e32 v[0:1], 3, v[36:37]
	v_add_nc_u32_e32 v31, 0x400, v30
	s_delay_alu instid0(VALU_DEP_2) | instskip(SKIP_1) | instid1(VALU_DEP_3)
	v_add_co_u32 v0, s0, v2, v0
	s_wait_alu 0xf1ff
	v_add_co_ci_u32_e64 v1, s0, v3, v1, s0
	s_clause 0xe
	global_load_b64 v[2:3], v[0:1], off
	global_load_b64 v[4:5], v[0:1], off offset:240
	global_load_b64 v[6:7], v[0:1], off offset:480
	;; [unrolled: 1-line block ×14, first 2 shown]
	s_wait_loadcnt 0xd
	ds_store_2addr_b64 v30, v[2:3], v[4:5] offset1:30
	s_wait_loadcnt 0xb
	ds_store_2addr_b64 v30, v[6:7], v[8:9] offset0:60 offset1:90
	s_wait_loadcnt 0x9
	ds_store_2addr_b64 v30, v[10:11], v[12:13] offset0:120 offset1:150
	;; [unrolled: 2-line block ×6, first 2 shown]
	s_wait_loadcnt 0x0
	ds_store_b64 v30, v[0:1] offset:3360
.LBB0_13:
	s_or_b32 exec_lo, exec_lo, s1
	v_add_nc_u32_e32 v0, 0, v45
	v_add_nc_u32_e32 v44, 0, v48
	global_wb scope:SCOPE_SE
	s_wait_dscnt 0x0
	s_barrier_signal -1
	s_barrier_wait -1
	v_add_nc_u32_e32 v37, v0, v48
	v_add_nc_u32_e32 v43, v44, v45
	global_inv scope:SCOPE_SE
	v_cmp_gt_u32_e64 s0, 15, v36
	ds_load_2addr_b64 v[0:3], v37 offset0:75 offset1:90
	ds_load_2addr_b64 v[4:7], v37 offset0:165 offset1:180
	ds_load_b64 v[49:50], v43
	s_wait_dscnt 0x1
	v_sub_f32_e32 v52, v2, v6
	s_wait_dscnt 0x0
	v_dual_add_f32 v54, v50, v3 :: v_dual_add_nc_u32 v47, 0x400, v37
	v_dual_add_f32 v51, v49, v2 :: v_dual_add_nc_u32 v46, 0x800, v37
	v_sub_f32_e32 v53, v6, v2
	s_delay_alu instid0(VALU_DEP_2)
	v_add_f32_e32 v51, v51, v6
	ds_load_2addr_b64 v[12:15], v47 offset0:127 offset1:142
	ds_load_2addr_b64 v[8:11], v46 offset0:89 offset1:104
	;; [unrolled: 1-line block ×5, first 2 shown]
	ds_load_b64 v[41:42], v37 offset:3480
	ds_load_2addr_b64 v[24:27], v46 offset0:44 offset1:59
	v_add_f32_e32 v54, v54, v7
	ds_load_2addr_b64 v[16:19], v46 offset0:134 offset1:149
	global_wb scope:SCOPE_SE
	s_wait_dscnt 0x0
	s_barrier_signal -1
	s_barrier_wait -1
	global_inv scope:SCOPE_SE
	v_add_f32_e32 v51, v51, v14
	v_dual_add_f32 v55, v6, v14 :: v_dual_add_f32 v62, v3, v11
	v_dual_sub_f32 v57, v7, v15 :: v_dual_sub_f32 v58, v10, v14
	v_dual_add_f32 v59, v2, v10 :: v_dual_sub_f32 v56, v3, v11
	v_dual_sub_f32 v60, v14, v10 :: v_dual_add_f32 v61, v7, v15
	s_delay_alu instid0(VALU_DEP_4) | instskip(NEXT) | instid1(VALU_DEP_3)
	v_fma_f32 v55, -0.5, v55, v49
	v_fma_f32 v49, -0.5, v59, v49
	s_delay_alu instid0(VALU_DEP_3) | instskip(SKIP_1) | instid1(VALU_DEP_4)
	v_dual_sub_f32 v2, v2, v10 :: v_dual_add_f32 v53, v53, v60
	v_add_f32_e32 v52, v52, v58
	v_dual_add_f32 v54, v54, v15 :: v_dual_fmamk_f32 v59, v56, 0x3f737871, v55
	v_fmac_f32_e32 v55, 0xbf737871, v56
	v_fmamk_f32 v60, v57, 0xbf737871, v49
	v_dual_fmac_f32 v49, 0x3f737871, v57 :: v_dual_sub_f32 v6, v6, v14
	v_fma_f32 v58, -0.5, v61, v50
	s_delay_alu instid0(VALU_DEP_3) | instskip(SKIP_3) | instid1(VALU_DEP_3)
	v_dual_add_f32 v51, v51, v10 :: v_dual_fmac_f32 v60, 0x3f167918, v56
	v_dual_fmac_f32 v59, 0x3f167918, v57 :: v_dual_sub_f32 v10, v3, v7
	v_dual_fmac_f32 v55, 0xbf167918, v57 :: v_dual_sub_f32 v14, v11, v15
	v_dual_fmac_f32 v49, 0xbf167918, v56 :: v_dual_fmac_f32 v50, -0.5, v62
	v_dual_fmac_f32 v59, 0x3e9e377a, v52 :: v_dual_fmac_f32 v60, 0x3e9e377a, v53
	s_delay_alu instid0(VALU_DEP_3) | instskip(NEXT) | instid1(VALU_DEP_3)
	v_dual_fmac_f32 v55, 0x3e9e377a, v52 :: v_dual_add_f32 v52, v54, v11
	v_dual_fmac_f32 v49, 0x3e9e377a, v53 :: v_dual_add_f32 v10, v10, v14
	s_delay_alu instid0(VALU_DEP_4) | instskip(SKIP_4) | instid1(VALU_DEP_3)
	v_fmamk_f32 v53, v6, 0x3f737871, v50
	v_sub_f32_e32 v3, v7, v3
	v_dual_sub_f32 v7, v15, v11 :: v_dual_fmac_f32 v50, 0xbf737871, v6
	v_add_f32_e32 v11, v30, v34
	v_fmamk_f32 v57, v2, 0xbf737871, v58
	v_dual_fmac_f32 v58, 0x3f737871, v2 :: v_dual_add_f32 v3, v3, v7
	v_add_f32_e32 v7, v22, v26
	v_fmac_f32_e32 v50, 0x3f167918, v2
	s_delay_alu instid0(VALU_DEP_4) | instskip(NEXT) | instid1(VALU_DEP_4)
	v_fmac_f32_e32 v57, 0xbf167918, v6
	v_fmac_f32_e32 v58, 0x3f167918, v6
	v_add_f32_e32 v6, v11, v22
	v_sub_f32_e32 v56, v26, v18
	v_fmac_f32_e32 v53, 0xbf167918, v2
	v_dual_fmac_f32 v57, 0x3e9e377a, v10 :: v_dual_fmac_f32 v50, 0x3e9e377a, v3
	s_delay_alu instid0(VALU_DEP_4) | instskip(SKIP_1) | instid1(VALU_DEP_4)
	v_add_f32_e32 v2, v6, v26
	v_add_f32_e32 v6, v34, v18
	v_dual_fmac_f32 v58, 0x3e9e377a, v10 :: v_dual_fmac_f32 v53, 0x3e9e377a, v3
	v_fma_f32 v7, -0.5, v7, v30
	v_sub_f32_e32 v10, v35, v19
	v_add_f32_e32 v54, v2, v18
	v_sub_f32_e32 v2, v23, v27
	v_fma_f32 v3, -0.5, v6, v30
	v_sub_f32_e32 v6, v34, v22
	v_fmamk_f32 v11, v10, 0x3f737871, v7
	v_sub_f32_e32 v14, v18, v26
	v_fmac_f32_e32 v7, 0xbf737871, v10
	v_fmamk_f32 v15, v2, 0xbf737871, v3
	v_sub_f32_e32 v30, v22, v34
	v_fmac_f32_e32 v3, 0x3f737871, v2
	v_add_f32_e32 v6, v6, v14
	v_fmac_f32_e32 v7, 0xbf167918, v2
	s_delay_alu instid0(VALU_DEP_4) | instskip(NEXT) | instid1(VALU_DEP_4)
	v_dual_fmac_f32 v15, 0x3f167918, v10 :: v_dual_add_f32 v14, v30, v56
	v_dual_fmac_f32 v3, 0xbf167918, v10 :: v_dual_add_f32 v10, v31, v35
	;; [unrolled: 1-line block ×3, first 2 shown]
	s_delay_alu instid0(VALU_DEP_3) | instskip(NEXT) | instid1(VALU_DEP_3)
	v_fmac_f32_e32 v15, 0x3e9e377a, v14
	v_dual_fmac_f32 v3, 0x3e9e377a, v14 :: v_dual_sub_f32 v14, v23, v35
	s_delay_alu instid0(VALU_DEP_3) | instskip(NEXT) | instid1(VALU_DEP_4)
	v_fmac_f32_e32 v11, 0x3e9e377a, v6
	v_fma_f32 v30, -0.5, v2, v31
	v_sub_f32_e32 v2, v34, v18
	v_dual_sub_f32 v34, v19, v27 :: v_dual_fmac_f32 v7, 0x3e9e377a, v6
	v_add_f32_e32 v6, v35, v19
	v_sub_f32_e32 v18, v22, v26
	s_delay_alu instid0(VALU_DEP_4) | instskip(SKIP_1) | instid1(VALU_DEP_4)
	v_fmamk_f32 v26, v2, 0xbf737871, v30
	v_fmac_f32_e32 v30, 0x3f737871, v2
	v_fma_f32 v22, -0.5, v6, v31
	v_add_f32_e32 v6, v10, v23
	v_sub_f32_e32 v10, v35, v23
	s_delay_alu instid0(VALU_DEP_4) | instskip(NEXT) | instid1(VALU_DEP_4)
	v_dual_sub_f32 v23, v27, v19 :: v_dual_fmac_f32 v30, 0x3f167918, v18
	v_fmamk_f32 v31, v18, 0x3f737871, v22
	v_fmac_f32_e32 v22, 0xbf737871, v18
	s_delay_alu instid0(VALU_DEP_4) | instskip(NEXT) | instid1(VALU_DEP_3)
	v_add_f32_e32 v10, v10, v34
	v_dual_add_f32 v14, v14, v23 :: v_dual_fmac_f32 v31, 0xbf167918, v2
	s_delay_alu instid0(VALU_DEP_3) | instskip(SKIP_4) | instid1(VALU_DEP_4)
	v_fmac_f32_e32 v22, 0x3f167918, v2
	v_add_f32_e32 v2, v6, v27
	v_fmac_f32_e32 v26, 0xbf167918, v18
	v_fmac_f32_e32 v30, 0x3e9e377a, v10
	;; [unrolled: 1-line block ×3, first 2 shown]
	v_dual_fmac_f32 v22, 0x3e9e377a, v14 :: v_dual_add_f32 v35, v2, v19
	s_delay_alu instid0(VALU_DEP_4) | instskip(NEXT) | instid1(VALU_DEP_3)
	v_fmac_f32_e32 v26, 0x3e9e377a, v10
	v_mul_f32_e32 v27, 0x3f737871, v31
	s_delay_alu instid0(VALU_DEP_1) | instskip(NEXT) | instid1(VALU_DEP_1)
	v_dual_fmac_f32 v27, 0x3e9e377a, v15 :: v_dual_add_f32 v2, v51, v54
	v_add_f32_e32 v10, v60, v27
	v_mul_f32_e32 v62, 0xbf737871, v15
	v_mul_f32_e32 v15, 0x3f4f1bbd, v30
	s_delay_alu instid0(VALU_DEP_2)
	v_fmac_f32_e32 v62, 0x3e9e377a, v31
	v_mul_f32_e32 v6, 0x3e9e377a, v3
	v_mul_f32_e32 v23, 0x3f4f1bbd, v11
	;; [unrolled: 1-line block ×4, first 2 shown]
	v_sub_f32_e32 v31, v53, v62
	v_fma_f32 v34, 0x3f737871, v22, -v6
	v_fmac_f32_e32 v23, 0x3f167918, v26
	v_fmac_f32_e32 v61, 0x3f4f1bbd, v26
	v_sub_f32_e32 v22, v51, v54
	v_mul_u32_u24_e32 v51, 10, v36
	v_fma_f32 v63, 0xbf737871, v3, -v11
	v_add_f32_e32 v6, v59, v23
	v_mul_f32_e32 v18, 0x3f4f1bbd, v7
	v_fma_f32 v64, 0xbf167918, v7, -v15
	v_add_f32_e32 v3, v52, v35
	v_add_f32_e32 v7, v57, v61
	v_lshl_add_u32 v51, v51, 3, v44
	v_fma_f32 v56, 0x3f167918, v30, -v18
	v_add_f32_e32 v14, v49, v34
	v_add_f32_e32 v11, v53, v62
	;; [unrolled: 1-line block ×5, first 2 shown]
	v_sub_f32_e32 v26, v59, v23
	v_sub_f32_e32 v23, v52, v35
	v_dual_sub_f32 v30, v60, v27 :: v_dual_sub_f32 v27, v57, v61
	v_dual_sub_f32 v34, v49, v34 :: v_dual_sub_f32 v49, v55, v56
	v_sub_f32_e32 v35, v50, v63
	v_sub_f32_e32 v50, v58, v64
	ds_store_2addr_b64 v51, v[2:3], v[6:7] offset1:1
	ds_store_2addr_b64 v51, v[10:11], v[14:15] offset0:2 offset1:3
	ds_store_2addr_b64 v51, v[18:19], v[22:23] offset0:4 offset1:5
	;; [unrolled: 1-line block ×4, first 2 shown]
	s_and_saveexec_b32 s1, s0
	s_cbranch_execz .LBB0_15
; %bb.14:
	v_dual_add_f32 v11, v13, v9 :: v_dual_sub_f32 v14, v4, v12
	v_dual_sub_f32 v2, v33, v21 :: v_dual_add_f32 v7, v12, v8
	v_dual_add_f32 v3, v21, v25 :: v_dual_sub_f32 v10, v32, v16
	v_dual_sub_f32 v15, v4, v41 :: v_dual_sub_f32 v18, v5, v42
	s_delay_alu instid0(VALU_DEP_4)
	v_fma_f32 v11, -0.5, v11, v1
	v_dual_sub_f32 v22, v42, v9 :: v_dual_sub_f32 v27, v41, v8
	v_dual_sub_f32 v6, v17, v25 :: v_dual_sub_f32 v23, v12, v8
	v_fma_f32 v3, -0.5, v3, v29
	v_fma_f32 v7, -0.5, v7, v0
	v_dual_sub_f32 v19, v5, v13 :: v_dual_fmamk_f32 v26, v15, 0x3f737871, v11
	v_dual_add_f32 v14, v14, v27 :: v_dual_add_f32 v51, v4, v41
	s_delay_alu instid0(VALU_DEP_3) | instskip(NEXT) | instid1(VALU_DEP_3)
	v_dual_fmamk_f32 v30, v18, 0xbf737871, v7 :: v_dual_sub_f32 v31, v13, v9
	v_dual_add_f32 v19, v19, v22 :: v_dual_fmac_f32 v26, 0x3f167918, v23
	v_dual_fmamk_f32 v34, v10, 0x3f737871, v3 :: v_dual_add_f32 v49, v33, v17
	s_delay_alu instid0(VALU_DEP_4)
	v_fma_f32 v51, -0.5, v51, v0
	v_add_f32_e32 v50, v5, v42
	v_dual_sub_f32 v22, v20, v24 :: v_dual_add_f32 v27, v2, v6
	v_dual_fmac_f32 v30, 0xbf167918, v31 :: v_dual_sub_f32 v53, v12, v4
	v_dual_fmac_f32 v26, 0x3e9e377a, v19 :: v_dual_sub_f32 v55, v9, v42
	v_fma_f32 v49, -0.5, v49, v29
	v_fmamk_f32 v58, v31, 0x3f737871, v51
	v_fmac_f32_e32 v51, 0xbf737871, v31
	v_fma_f32 v50, -0.5, v50, v1
	v_dual_add_f32 v1, v1, v5 :: v_dual_fmac_f32 v34, 0x3f167918, v22
	v_dual_sub_f32 v57, v8, v41 :: v_dual_fmac_f32 v30, 0x3e9e377a, v14
	v_mul_f32_e32 v2, 0x3f4f1bbd, v26
	v_dual_sub_f32 v6, v21, v33 :: v_dual_fmamk_f32 v59, v22, 0xbf737871, v49
	v_sub_f32_e32 v52, v25, v17
	v_dual_fmamk_f32 v56, v23, 0xbf737871, v50 :: v_dual_fmac_f32 v11, 0xbf737871, v15
	v_dual_fmac_f32 v50, 0x3f737871, v23 :: v_dual_add_f32 v1, v1, v13
	v_dual_sub_f32 v54, v13, v5 :: v_dual_fmac_f32 v49, 0x3f737871, v22
	s_delay_alu instid0(VALU_DEP_3)
	v_dual_fmac_f32 v56, 0x3f167918, v15 :: v_dual_add_f32 v53, v53, v57
	v_dual_fmac_f32 v59, 0x3f167918, v10 :: v_dual_add_f32 v6, v6, v52
	v_fmac_f32_e32 v7, 0x3f737871, v18
	v_fmac_f32_e32 v34, 0x3e9e377a, v27
	v_dual_fmac_f32 v50, 0xbf167918, v15 :: v_dual_fmac_f32 v49, 0xbf167918, v10
	v_add_f32_e32 v15, v29, v33
	v_fma_f32 v35, 0xbf167918, v30, -v2
	v_fmac_f32_e32 v51, 0x3f167918, v18
	v_dual_fmac_f32 v59, 0x3e9e377a, v6 :: v_dual_add_f32 v54, v54, v55
	v_dual_fmac_f32 v58, 0xbf167918, v18 :: v_dual_fmac_f32 v11, 0xbf167918, v23
	s_delay_alu instid0(VALU_DEP_3)
	v_dual_sub_f32 v2, v34, v35 :: v_dual_fmac_f32 v51, 0x3e9e377a, v53
	v_fmac_f32_e32 v7, 0x3f167918, v31
	v_fmac_f32_e32 v3, 0xbf737871, v10
	v_dual_add_f32 v15, v15, v21 :: v_dual_fmac_f32 v56, 0x3e9e377a, v54
	v_fmac_f32_e32 v11, 0x3e9e377a, v19
	v_mul_f32_e32 v18, 0xbf737871, v51
	v_fmac_f32_e32 v7, 0x3e9e377a, v14
	v_dual_fmac_f32 v3, 0xbf167918, v22 :: v_dual_add_f32 v14, v20, v24
	v_mul_f32_e32 v52, 0x3e9e377a, v56
	v_fmac_f32_e32 v50, 0x3e9e377a, v54
	v_dual_fmac_f32 v58, 0x3e9e377a, v53 :: v_dual_fmac_f32 v49, 0x3e9e377a, v6
	s_delay_alu instid0(VALU_DEP_4) | instskip(SKIP_1) | instid1(VALU_DEP_4)
	v_fmac_f32_e32 v3, 0x3e9e377a, v27
	v_mul_f32_e32 v19, 0xbf167918, v7
	v_dual_fmac_f32 v18, 0x3e9e377a, v50 :: v_dual_sub_f32 v13, v32, v20
	v_fma_f32 v5, -0.5, v14, v28
	s_delay_alu instid0(VALU_DEP_3) | instskip(NEXT) | instid1(VALU_DEP_3)
	v_dual_sub_f32 v14, v33, v17 :: v_dual_fmac_f32 v19, 0x3f4f1bbd, v11
	v_sub_f32_e32 v10, v49, v18
	v_dual_sub_f32 v22, v16, v24 :: v_dual_sub_f32 v21, v21, v25
	s_delay_alu instid0(VALU_DEP_3) | instskip(SKIP_2) | instid1(VALU_DEP_4)
	v_fmamk_f32 v23, v14, 0xbf737871, v5
	v_add_f32_e32 v15, v15, v25
	v_dual_add_f32 v1, v1, v9 :: v_dual_add_f32 v0, v0, v4
	v_dual_add_f32 v9, v32, v16 :: v_dual_add_f32 v22, v13, v22
	s_delay_alu instid0(VALU_DEP_3) | instskip(SKIP_1) | instid1(VALU_DEP_3)
	v_dual_add_f32 v25, v15, v17 :: v_dual_mul_f32 v4, 0x3e9e377a, v58
	v_sub_f32_e32 v17, v24, v16
	v_fma_f32 v29, -0.5, v9, v28
	v_sub_f32_e32 v9, v20, v32
	v_fma_f32 v52, 0xbf737871, v58, -v52
	v_add_f32_e32 v0, v0, v12
	s_delay_alu instid0(VALU_DEP_3) | instskip(SKIP_1) | instid1(VALU_DEP_3)
	v_dual_mul_f32 v12, 0x3f737871, v50 :: v_dual_add_f32 v9, v9, v17
	v_add_f32_e32 v27, v1, v42
	v_dual_mul_f32 v1, 0x3f4f1bbd, v30 :: v_dual_add_f32 v0, v0, v8
	v_dual_fmamk_f32 v30, v21, 0x3f737871, v29 :: v_dual_add_f32 v17, v28, v32
	v_fma_f32 v28, 0x3f737871, v56, -v4
	v_add_f32_e32 v4, v34, v35
	v_add_f32_e32 v8, v59, v52
	s_delay_alu instid0(VALU_DEP_4) | instskip(SKIP_3) | instid1(VALU_DEP_4)
	v_fmac_f32_e32 v30, 0xbf167918, v14
	v_fmac_f32_e32 v29, 0xbf737871, v21
	;; [unrolled: 1-line block ×3, first 2 shown]
	v_dual_add_f32 v17, v17, v20 :: v_dual_add_f32 v0, v0, v41
	v_fmac_f32_e32 v30, 0x3e9e377a, v9
	s_delay_alu instid0(VALU_DEP_4) | instskip(SKIP_3) | instid1(VALU_DEP_4)
	v_fmac_f32_e32 v29, 0x3f167918, v14
	v_sub_f32_e32 v15, v25, v27
	v_dual_fmac_f32 v23, 0x3e9e377a, v22 :: v_dual_fmac_f32 v12, 0x3e9e377a, v51
	v_fma_f32 v26, 0x3f167918, v26, -v1
	v_fmac_f32_e32 v29, 0x3e9e377a, v9
	v_add_f32_e32 v9, v17, v24
	v_sub_f32_e32 v13, v3, v19
	v_mul_f32_e32 v24, 0x3f4f1bbd, v7
	v_mul_i32_i24_e32 v7, 10, v40
	v_add_f32_e32 v17, v49, v18
	v_dual_add_f32 v16, v9, v16 :: v_dual_fmac_f32 v5, 0x3f737871, v14
	s_delay_alu instid0(VALU_DEP_4) | instskip(SKIP_1) | instid1(VALU_DEP_3)
	v_dual_fmac_f32 v24, 0x3f167918, v11 :: v_dual_sub_f32 v1, v23, v26
	v_sub_f32_e32 v6, v59, v52
	v_sub_f32_e32 v14, v16, v0
	s_delay_alu instid0(VALU_DEP_4) | instskip(SKIP_1) | instid1(VALU_DEP_2)
	v_dual_add_f32 v20, v16, v0 :: v_dual_fmac_f32 v5, 0x3f167918, v21
	v_add_f32_e32 v21, v25, v27
	v_fmac_f32_e32 v5, 0x3e9e377a, v22
	v_add_f32_e32 v19, v3, v19
	v_lshlrev_b32_e32 v3, 3, v7
	v_add_f32_e32 v7, v30, v28
	s_delay_alu instid0(VALU_DEP_4) | instskip(SKIP_1) | instid1(VALU_DEP_4)
	v_add_f32_e32 v18, v5, v24
	v_add_f32_e32 v16, v29, v12
	v_add3_u32 v0, 0, v3, v48
	v_add_f32_e32 v3, v23, v26
	v_sub_f32_e32 v9, v29, v12
	v_sub_f32_e32 v12, v5, v24
	;; [unrolled: 1-line block ×3, first 2 shown]
	ds_store_2addr_b64 v0, v[20:21], v[18:19] offset1:1
	ds_store_2addr_b64 v0, v[16:17], v[7:8] offset0:2 offset1:3
	ds_store_2addr_b64 v0, v[3:4], v[14:15] offset0:4 offset1:5
	;; [unrolled: 1-line block ×4, first 2 shown]
.LBB0_15:
	s_wait_alu 0xfffe
	s_or_b32 exec_lo, exec_lo, s1
	v_dual_mov_b32 v5, 0 :: v_dual_and_b32 v0, 0xff, v36
	global_wb scope:SCOPE_SE
	s_wait_dscnt 0x0
	s_barrier_signal -1
	s_barrier_wait -1
	v_mul_lo_u16 v0, 0xcd, v0
	global_inv scope:SCOPE_SE
	v_dual_mov_b32 v42, v5 :: v_dual_add_nc_u32 v11, 60, v36
	v_subrev_nc_u32_e32 v14, 20, v36
	v_lshrrev_b16 v35, 11, v0
	v_cmp_gt_u32_e64 s1, 20, v36
	s_mov_b32 s2, exec_lo
	s_delay_alu instid0(VALU_DEP_2) | instskip(SKIP_1) | instid1(VALU_DEP_2)
	v_mul_lo_u16 v1, v35, 10
	s_wait_alu 0xf1ff
	v_cndmask_b32_e64 v14, v14, v40, s1
	s_delay_alu instid0(VALU_DEP_2) | instskip(NEXT) | instid1(VALU_DEP_1)
	v_sub_nc_u16 v1, v36, v1
	v_and_b32_e32 v80, 0xff, v1
	s_delay_alu instid0(VALU_DEP_1)
	v_lshlrev_b32_e32 v1, 5, v80
	s_clause 0x1
	global_load_b128 v[15:18], v1, s[4:5]
	global_load_b128 v[19:22], v1, s[4:5] offset:16
	v_and_b32_e32 v0, 0xff, v40
	v_and_b32_e32 v2, 0xff, v11
	s_delay_alu instid0(VALU_DEP_2) | instskip(NEXT) | instid1(VALU_DEP_2)
	v_mul_lo_u16 v0, 0xcd, v0
	v_mul_lo_u16 v2, 0xcd, v2
	s_delay_alu instid0(VALU_DEP_2) | instskip(NEXT) | instid1(VALU_DEP_2)
	v_lshrrev_b16 v79, 11, v0
	v_lshrrev_b16 v82, 11, v2
	s_delay_alu instid0(VALU_DEP_2) | instskip(NEXT) | instid1(VALU_DEP_2)
	v_mul_lo_u16 v0, v79, 10
	v_mul_lo_u16 v1, v82, 10
	s_delay_alu instid0(VALU_DEP_2) | instskip(NEXT) | instid1(VALU_DEP_2)
	v_sub_nc_u16 v0, v40, v0
	v_sub_nc_u16 v1, v11, v1
	s_delay_alu instid0(VALU_DEP_2) | instskip(NEXT) | instid1(VALU_DEP_2)
	v_and_b32_e32 v81, 0xff, v0
	v_and_b32_e32 v83, 0xff, v1
	s_delay_alu instid0(VALU_DEP_2)
	v_lshlrev_b32_e32 v0, 5, v81
	s_clause 0x1
	global_load_b128 v[23:26], v0, s[4:5]
	global_load_b128 v[27:30], v0, s[4:5] offset:16
	v_lshlrev_b32_e32 v0, 5, v83
	s_clause 0x1
	global_load_b128 v[31:34], v0, s[4:5]
	global_load_b128 v[49:52], v0, s[4:5] offset:16
	ds_load_b64 v[6:7], v43
	ds_load_2addr_b64 v[0:3], v37 offset0:60 offset1:90
	ds_load_2addr_b64 v[53:56], v37 offset0:180 offset1:210
	;; [unrolled: 1-line block ×4, first 2 shown]
	v_and_b32_e32 v35, 0xffff, v35
	ds_load_2addr_b64 v[65:68], v37 offset0:120 offset1:150
	ds_load_2addr_b64 v[69:72], v46 offset0:44 offset1:74
	v_and_b32_e32 v82, 0xffff, v82
	v_lshlrev_b32_e32 v80, 3, v80
	v_mad_u32_u24 v35, 0x190, v35, 0
	v_and_b32_e32 v79, 0xffff, v79
	v_add_nc_u32_e32 v13, 0x5a, v36
	v_mad_u32_u24 v82, 0x190, v82, 0
	s_delay_alu instid0(VALU_DEP_4) | instskip(SKIP_2) | instid1(VALU_DEP_2)
	v_add3_u32 v35, v35, v80, v48
	v_lshlrev_b32_e32 v80, 3, v83
	v_mad_u32_u24 v79, 0x190, v79, 0
	v_add3_u32 v80, v82, v80, v48
	s_wait_loadcnt_dscnt 0x504
	v_dual_mul_f32 v82, v18, v54 :: v_dual_lshlrev_b32 v81, 3, v81
	s_wait_loadcnt_dscnt 0x402
	v_dual_mul_f32 v18, v18, v53 :: v_dual_mul_f32 v87, v61, v22
	v_lshlrev_b32_e32 v8, 3, v40
	v_mul_f32_e32 v83, v20, v60
	v_add3_u32 v79, v79, v81, v48
	v_mul_f32_e32 v81, v16, v3
	v_dual_fmac_f32 v87, v62, v21 :: v_dual_mul_f32 v16, v16, v2
	v_lshlrev_b32_e32 v41, 1, v14
	v_fmac_f32_e32 v18, v17, v54
	v_add3_u32 v10, 0, v8, v48
	v_mul_f32_e32 v20, v20, v59
	v_fmac_f32_e32 v16, v15, v3
	v_fma_f32 v3, v17, v53, -v82
	v_and_b32_e32 v84, 0xff, v13
	ds_load_b64 v[73:74], v10
	ds_load_b64 v[75:76], v37 offset:3360
	v_fma_f32 v2, v15, v2, -v81
	v_fmac_f32_e32 v20, v19, v60
	v_lshlrev_b64_e32 v[41:42], 3, v[41:42]
	global_wb scope:SCOPE_SE
	s_wait_loadcnt_dscnt 0x0
	s_barrier_signal -1
	s_barrier_wait -1
	global_inv scope:SCOPE_SE
	v_lshlrev_b32_e32 v14, 3, v14
	v_mul_f32_e32 v86, v62, v22
	s_delay_alu instid0(VALU_DEP_1) | instskip(NEXT) | instid1(VALU_DEP_1)
	v_fma_f32 v53, v61, v21, -v86
	v_sub_f32_e32 v61, v2, v53
	v_mul_f32_e32 v17, v65, v24
	v_add_nc_u32_e32 v12, 0x78, v36
	v_mul_f32_e32 v21, v69, v28
	v_lshlrev_b32_e32 v4, 1, v36
	v_mul_f32_e32 v15, v66, v24
	v_fmac_f32_e32 v17, v66, v23
	v_dual_mul_f32 v22, v56, v26 :: v_dual_and_b32 v85, 0xff, v12
	v_mul_f32_e32 v24, v55, v26
	v_fma_f32 v26, v19, v59, -v83
	v_mul_f32_e32 v19, v70, v28
	v_fmac_f32_e32 v21, v70, v27
	v_lshlrev_b64_e32 v[8:9], 3, v[4:5]
	v_add_nc_u32_e32 v4, 20, v4
	v_mul_f32_e32 v28, v64, v30
	v_fma_f32 v19, v69, v27, -v19
	v_mul_f32_e32 v27, v58, v34
	v_mul_f32_e32 v30, v63, v30
	v_lshlrev_b64_e32 v[77:78], 3, v[4:5]
	v_mul_lo_u16 v4, v84, 41
	v_mul_lo_u16 v84, v85, 41
	v_fma_f32 v22, v55, v25, -v22
	v_dual_fmac_f32 v24, v56, v25 :: v_dual_mul_f32 v25, v67, v32
	s_delay_alu instid0(VALU_DEP_4) | instskip(NEXT) | instid1(VALU_DEP_4)
	v_lshrrev_b16 v85, 11, v4
	v_lshrrev_b16 v4, 11, v84
	v_fma_f32 v54, v63, v29, -v28
	v_dual_mul_f32 v28, v57, v34 :: v_dual_add_f32 v59, v7, v16
	s_delay_alu instid0(VALU_DEP_4) | instskip(SKIP_3) | instid1(VALU_DEP_4)
	v_mul_lo_u16 v84, v85, 50
	v_fma_f32 v15, v65, v23, -v15
	v_dual_fmac_f32 v30, v64, v29 :: v_dual_sub_f32 v55, v53, v26
	v_mul_f32_e32 v23, v68, v32
	v_sub_nc_u16 v84, v13, v84
	v_mul_f32_e32 v29, v72, v50
	v_mul_f32_e32 v32, v71, v50
	;; [unrolled: 1-line block ×3, first 2 shown]
	v_dual_mul_f32 v50, v75, v52 :: v_dual_sub_f32 v63, v16, v18
	v_fma_f32 v27, v57, v33, -v27
	v_dual_fmac_f32 v28, v58, v33 :: v_dual_add_f32 v65, v16, v87
	v_dual_add_f32 v33, v3, v26 :: v_dual_and_b32 v84, 0xff, v84
	v_fmac_f32_e32 v25, v68, v31
	v_fma_f32 v23, v67, v31, -v23
	v_fma_f32 v31, v71, v49, -v29
	v_dual_fmac_f32 v32, v72, v49 :: v_dual_add_f32 v67, v73, v15
	v_dual_fmac_f32 v50, v76, v51 :: v_dual_sub_f32 v69, v17, v30
	v_add_f32_e32 v29, v6, v2
	v_sub_f32_e32 v52, v2, v3
	v_dual_add_f32 v56, v2, v53 :: v_dual_sub_f32 v81, v19, v54
	v_sub_f32_e32 v57, v3, v2
	v_fma_f32 v49, v75, v51, -v34
	v_dual_sub_f32 v34, v16, v87 :: v_dual_sub_f32 v71, v15, v22
	v_dual_sub_f32 v58, v26, v53 :: v_dual_sub_f32 v89, v17, v24
	v_dual_sub_f32 v64, v87, v20 :: v_dual_add_f32 v91, v17, v30
	v_sub_f32_e32 v16, v18, v16
	v_sub_f32_e32 v66, v20, v87
	v_add_f32_e32 v82, v74, v17
	v_sub_f32_e32 v17, v24, v17
	v_fma_f32 v2, -0.5, v33, v6
	v_dual_sub_f32 v33, v21, v30 :: v_dual_add_f32 v60, v18, v20
	v_dual_add_f32 v83, v24, v21 :: v_dual_add_f32 v68, v22, v19
	v_sub_f32_e32 v72, v54, v19
	v_sub_f32_e32 v76, v22, v15
	v_dual_sub_f32 v62, v3, v26 :: v_dual_add_f32 v29, v29, v3
	v_dual_add_f32 v75, v15, v54 :: v_dual_sub_f32 v88, v22, v19
	v_fma_f32 v6, -0.5, v56, v6
	s_delay_alu instid0(VALU_DEP_3)
	v_dual_add_f32 v56, v63, v64 :: v_dual_add_f32 v29, v29, v26
	v_add_f32_e32 v63, v17, v33
	v_add_f32_e32 v33, v0, v23
	v_dual_sub_f32 v51, v18, v20 :: v_dual_sub_f32 v70, v24, v21
	v_sub_f32_e32 v90, v30, v21
	v_dual_add_f32 v52, v52, v55 :: v_dual_add_f32 v55, v57, v58
	v_add_f32_e32 v18, v59, v18
	v_fma_f32 v3, -0.5, v60, v7
	v_fmac_f32_e32 v7, -0.5, v65
	v_add_f32_e32 v57, v16, v66
	v_dual_sub_f32 v86, v15, v54 :: v_dual_add_f32 v59, v76, v81
	v_add_f32_e32 v22, v67, v22
	v_fma_f32 v15, -0.5, v68, v73
	v_add_f32_e32 v58, v71, v72
	v_add_f32_e32 v24, v82, v24
	v_fma_f32 v16, -0.5, v83, v74
	v_dual_add_f32 v64, v27, v31 :: v_dual_fmamk_f32 v17, v34, 0x3f737871, v2
	v_sub_f32_e32 v67, v23, v27
	v_dual_sub_f32 v68, v49, v31 :: v_dual_add_f32 v71, v23, v49
	v_dual_add_f32 v76, v1, v25 :: v_dual_add_f32 v81, v28, v32
	v_dual_fmac_f32 v74, -0.5, v91 :: v_dual_add_f32 v93, v18, v20
	v_add_f32_e32 v91, v25, v50
	v_fma_f32 v73, -0.5, v75, v73
	v_sub_f32_e32 v72, v27, v23
	v_sub_f32_e32 v75, v31, v49
	v_dual_sub_f32 v82, v23, v49 :: v_dual_add_f32 v33, v33, v27
	v_dual_sub_f32 v92, v28, v25 :: v_dual_fmamk_f32 v23, v69, 0x3f737871, v15
	v_dual_sub_f32 v94, v32, v50 :: v_dual_fmac_f32 v15, 0xbf737871, v69
	v_fmac_f32_e32 v2, 0xbf737871, v34
	v_dual_add_f32 v60, v89, v90 :: v_dual_sub_f32 v83, v27, v31
	v_sub_f32_e32 v65, v25, v50
	v_sub_f32_e32 v89, v25, v28
	v_dual_sub_f32 v66, v28, v32 :: v_dual_add_f32 v95, v22, v19
	v_fma_f32 v19, -0.5, v64, v0
	v_fma_f32 v0, -0.5, v71, v0
	v_fmamk_f32 v18, v61, 0xbf737871, v3
	v_dual_fmac_f32 v3, 0x3f737871, v61 :: v_dual_sub_f32 v90, v50, v32
	v_dual_add_f32 v96, v24, v21 :: v_dual_fmamk_f32 v21, v51, 0xbf737871, v6
	v_add_f32_e32 v64, v67, v68
	v_dual_fmac_f32 v6, 0x3f737871, v51 :: v_dual_add_f32 v27, v29, v53
	v_fmamk_f32 v22, v62, 0x3f737871, v7
	v_dual_fmac_f32 v7, 0xbf737871, v62 :: v_dual_add_f32 v68, v76, v28
	v_fma_f32 v20, -0.5, v81, v1
	v_dual_fmac_f32 v1, -0.5, v91 :: v_dual_fmamk_f32 v24, v86, 0xbf737871, v16
	v_add_f32_e32 v67, v72, v75
	v_fmamk_f32 v25, v70, 0xbf737871, v73
	v_fmac_f32_e32 v73, 0x3f737871, v70
	v_dual_add_f32 v72, v92, v94 :: v_dual_fmac_f32 v17, 0x3f167918, v51
	v_dual_fmac_f32 v2, 0xbf167918, v51 :: v_dual_fmac_f32 v15, 0xbf167918, v70
	v_dual_add_f32 v51, v33, v31 :: v_dual_fmamk_f32 v26, v88, 0x3f737871, v74
	v_fmac_f32_e32 v74, 0xbf737871, v88
	v_dual_fmac_f32 v16, 0x3f737871, v86 :: v_dual_fmamk_f32 v31, v65, 0x3f737871, v19
	v_dual_fmac_f32 v21, 0x3f167918, v34 :: v_dual_add_f32 v28, v93, v87
	v_dual_fmac_f32 v6, 0xbf167918, v34 :: v_dual_fmac_f32 v73, 0xbf167918, v69
	v_add_f32_e32 v29, v95, v54
	v_dual_fmac_f32 v18, 0xbf167918, v62 :: v_dual_add_f32 v53, v68, v32
	v_fmac_f32_e32 v19, 0xbf737871, v65
	v_fmamk_f32 v33, v66, 0xbf737871, v0
	v_fmac_f32_e32 v0, 0x3f737871, v66
	v_fmamk_f32 v32, v82, 0xbf737871, v20
	;; [unrolled: 2-line block ×3, first 2 shown]
	v_fmac_f32_e32 v1, 0xbf737871, v83
	v_add_f32_e32 v71, v89, v90
	v_dual_fmac_f32 v3, 0x3f167918, v62 :: v_dual_fmac_f32 v16, 0x3f167918, v88
	v_dual_fmac_f32 v22, 0xbf167918, v61 :: v_dual_fmac_f32 v19, 0xbf167918, v66
	v_dual_fmac_f32 v7, 0x3f167918, v61 :: v_dual_add_f32 v30, v96, v30
	v_dual_fmac_f32 v23, 0x3f167918, v70 :: v_dual_fmac_f32 v20, 0x3f167918, v83
	v_fmac_f32_e32 v24, 0xbf167918, v88
	v_add_co_u32 v8, s1, s4, v8
	v_dual_fmac_f32 v25, 0x3f167918, v69 :: v_dual_fmac_f32 v74, 0x3f167918, v86
	v_dual_add_f32 v49, v51, v49 :: v_dual_fmac_f32 v26, 0xbf167918, v86
	v_dual_fmac_f32 v17, 0x3e9e377a, v52 :: v_dual_fmac_f32 v6, 0x3e9e377a, v55
	v_dual_fmac_f32 v18, 0x3e9e377a, v56 :: v_dual_fmac_f32 v7, 0x3e9e377a, v57
	v_fmac_f32_e32 v31, 0x3f167918, v66
	v_fmac_f32_e32 v0, 0xbf167918, v65
	v_dual_add_f32 v50, v53, v50 :: v_dual_fmac_f32 v33, 0x3f167918, v65
	v_fmac_f32_e32 v32, 0xbf167918, v83
	v_fmac_f32_e32 v34, 0xbf167918, v82
	v_fmac_f32_e32 v1, 0x3f167918, v82
	s_wait_alu 0xf1ff
	v_add_co_ci_u32_e64 v9, s1, s5, v9, s1
	v_dual_fmac_f32 v2, 0x3e9e377a, v52 :: v_dual_fmac_f32 v21, 0x3e9e377a, v55
	v_dual_fmac_f32 v3, 0x3e9e377a, v56 :: v_dual_fmac_f32 v22, 0x3e9e377a, v57
	v_add_co_u32 v41, s1, s4, v41
	v_dual_fmac_f32 v23, 0x3e9e377a, v58 :: v_dual_fmac_f32 v24, 0x3e9e377a, v60
	s_wait_alu 0xf1ff
	v_add_co_ci_u32_e64 v42, s1, s5, v42, s1
	v_dual_fmac_f32 v25, 0x3e9e377a, v59 :: v_dual_fmac_f32 v34, 0x3e9e377a, v72
	v_fmac_f32_e32 v73, 0x3e9e377a, v59
	v_dual_fmac_f32 v26, 0x3e9e377a, v63 :: v_dual_fmac_f32 v31, 0x3e9e377a, v64
	v_dual_fmac_f32 v74, 0x3e9e377a, v63 :: v_dual_fmac_f32 v19, 0x3e9e377a, v64
	;; [unrolled: 1-line block ×3, first 2 shown]
	v_fmac_f32_e32 v33, 0x3e9e377a, v67
	v_dual_fmac_f32 v0, 0x3e9e377a, v67 :: v_dual_fmac_f32 v1, 0x3e9e377a, v72
	v_fmac_f32_e32 v32, 0x3e9e377a, v71
	v_fmac_f32_e32 v20, 0x3e9e377a, v71
	ds_store_2addr_b64 v35, v[27:28], v[17:18] offset1:10
	ds_store_2addr_b64 v35, v[21:22], v[6:7] offset0:20 offset1:30
	ds_store_b64 v35, v[2:3] offset:320
	ds_store_2addr_b64 v79, v[29:30], v[23:24] offset1:10
	ds_store_2addr_b64 v79, v[25:26], v[73:74] offset0:20 offset1:30
	ds_store_b64 v79, v[15:16] offset:320
	;; [unrolled: 3-line block ×3, first 2 shown]
	v_add_co_u32 v6, s1, s4, v77
	s_wait_alu 0xf1ff
	v_add_co_ci_u32_e64 v7, s1, s5, v78, s1
	global_wb scope:SCOPE_SE
	s_wait_dscnt 0x0
	s_barrier_signal -1
	s_barrier_wait -1
	global_inv scope:SCOPE_SE
	s_clause 0x2
	global_load_b128 v[0:3], v[8:9], off offset:320
	global_load_b128 v[19:22], v[6:7], off offset:320
	;; [unrolled: 1-line block ×3, first 2 shown]
	v_mul_lo_u16 v4, v4, 50
	v_cmp_lt_u32_e64 s1, 19, v36
	s_delay_alu instid0(VALU_DEP_2) | instskip(NEXT) | instid1(VALU_DEP_1)
	v_sub_nc_u16 v4, v12, v4
	v_and_b32_e32 v31, 0xff, v4
	v_lshlrev_b32_e32 v4, 4, v84
	s_delay_alu instid0(VALU_DEP_2)
	v_lshlrev_b32_e32 v6, 4, v31
	s_clause 0x1
	global_load_b128 v[23:26], v4, s[4:5] offset:320
	global_load_b128 v[27:30], v6, s[4:5] offset:320
	s_wait_alu 0xf1ff
	v_cndmask_b32_e64 v6, 0, 0x4b0, s1
	v_lshlrev_b32_e32 v4, 1, v40
	s_delay_alu instid0(VALU_DEP_2) | instskip(NEXT) | instid1(VALU_DEP_2)
	v_add_nc_u32_e32 v32, 0, v6
	v_lshlrev_b64_e32 v[6:7], 3, v[4:5]
	v_lshlrev_b32_e32 v4, 1, v11
	v_and_b32_e32 v11, 0xffff, v85
	s_delay_alu instid0(VALU_DEP_4) | instskip(NEXT) | instid1(VALU_DEP_3)
	v_add3_u32 v35, v32, v14, v48
	v_lshlrev_b64_e32 v[41:42], 3, v[4:5]
	v_lshlrev_b32_e32 v4, 1, v13
	v_lshlrev_b32_e32 v13, 3, v31
	v_mad_u32_u24 v49, 0x4b0, v11, 0
	v_add_co_u32 v6, s1, s4, v6
	s_delay_alu instid0(VALU_DEP_4)
	v_lshlrev_b64_e32 v[60:61], 3, v[4:5]
	v_lshlrev_b32_e32 v4, 1, v12
	v_add3_u32 v72, 0, v13, v48
	ds_load_2addr_b64 v[11:14], v37 offset0:120 offset1:150
	ds_load_2addr_b64 v[31:34], v46 offset0:44 offset1:74
	ds_load_b64 v[62:63], v43
	ds_load_b64 v[64:65], v37 offset:1440
	ds_load_2addr_b32 v[66:67], v47 offset0:164 offset1:165
	s_wait_alu 0xf1ff
	v_add_co_ci_u32_e64 v7, s1, s5, v7, s1
	v_add_co_u32 v41, s1, s4, v41
	s_wait_alu 0xf1ff
	v_add_co_ci_u32_e64 v42, s1, s5, v42, s1
	s_wait_loadcnt_dscnt 0x404
	v_mul_f32_e32 v75, v1, v14
	s_wait_loadcnt_dscnt 0x300
	v_dual_mul_f32 v79, v67, v20 :: v_dual_mul_f32 v20, v20, v66
	s_wait_loadcnt 0x2
	v_mul_f32_e32 v77, v16, v65
	v_mul_f32_e32 v16, v16, v64
	v_dual_mul_f32 v78, v18, v34 :: v_dual_mul_f32 v1, v1, v13
	v_fmac_f32_e32 v20, v67, v19
	v_mul_f32_e32 v18, v18, v33
	s_delay_alu instid0(VALU_DEP_4)
	v_fmac_f32_e32 v16, v15, v65
	v_mul_f32_e32 v76, v3, v32
	v_mul_f32_e32 v3, v3, v31
	v_fma_f32 v13, v0, v13, -v75
	v_fmac_f32_e32 v18, v17, v34
	v_dual_fmac_f32 v1, v0, v14 :: v_dual_lshlrev_b32 v50, 3, v84
	v_fma_f32 v0, v2, v31, -v76
	v_fmac_f32_e32 v3, v2, v32
	s_delay_alu instid0(VALU_DEP_3)
	v_add3_u32 v73, v49, v50, v48
	ds_load_2addr_b64 v[48:51], v46 offset0:104 offset1:134
	ds_load_2addr_b64 v[52:55], v47 offset0:112 offset1:142
	;; [unrolled: 1-line block ×3, first 2 shown]
	ds_load_b64 v[68:69], v10
	ds_load_b64 v[70:71], v37 offset:3360
	v_sub_f32_e32 v34, v13, v0
	v_dual_add_f32 v32, v63, v1 :: v_dual_sub_f32 v31, v1, v3
	global_wb scope:SCOPE_SE
	s_wait_loadcnt_dscnt 0x0
	s_barrier_signal -1
	s_barrier_wait -1
	global_inv scope:SCOPE_SE
	v_mul_f32_e32 v81, v53, v24
	v_mul_f32_e32 v24, v52, v24
	v_dual_mul_f32 v83, v55, v28 :: v_dual_mul_f32 v80, v49, v22
	v_mul_f32_e32 v22, v48, v22
	v_mul_f32_e32 v14, v71, v30
	s_delay_alu instid0(VALU_DEP_4)
	v_fmac_f32_e32 v24, v53, v23
	v_mul_f32_e32 v2, v54, v28
	v_mul_f32_e32 v28, v70, v30
	v_fma_f32 v30, v15, v64, -v77
	v_fma_f32 v15, v17, v33, -v78
	v_add_f32_e32 v33, v1, v3
	v_fmac_f32_e32 v2, v55, v27
	v_fmac_f32_e32 v28, v71, v29
	v_mul_f32_e32 v82, v51, v26
	v_dual_mul_f32 v26, v50, v26 :: v_dual_add_f32 v1, v32, v3
	v_fma_f32 v17, v19, v66, -v79
	v_fma_f32 v19, v48, v21, -v80
	v_add_f32_e32 v66, v59, v24
	s_delay_alu instid0(VALU_DEP_4) | instskip(SKIP_2) | instid1(VALU_DEP_3)
	v_dual_fmac_f32 v26, v51, v25 :: v_dual_sub_f32 v71, v2, v28
	v_dual_fmac_f32 v63, -0.5, v33 :: v_dual_add_nc_u32 v74, 0x800, v72
	v_add_f32_e32 v51, v56, v17
	v_sub_f32_e32 v65, v24, v26
	v_add_f32_e32 v24, v24, v26
	v_fmac_f32_e32 v22, v49, v21
	v_fma_f32 v21, v52, v23, -v81
	v_fma_f32 v23, v50, v25, -v82
	;; [unrolled: 1-line block ×3, first 2 shown]
	v_fmac_f32_e32 v59, -0.5, v24
	v_fma_f32 v27, v70, v29, -v14
	v_dual_add_f32 v14, v62, v13 :: v_dual_add_f32 v29, v13, v0
	v_dual_add_f32 v13, v68, v30 :: v_dual_add_f32 v52, v17, v19
	v_add_f32_e32 v64, v21, v23
	v_sub_f32_e32 v67, v21, v23
	v_dual_add_f32 v70, v25, v27 :: v_dual_add_f32 v75, v12, v2
	v_add_f32_e32 v50, v69, v16
	v_sub_f32_e32 v55, v17, v19
	v_add_f32_e32 v17, v58, v21
	v_dual_add_f32 v21, v11, v25 :: v_dual_add_f32 v76, v2, v28
	v_add_f32_e32 v2, v13, v15
	v_add_f32_e32 v13, v51, v19
	v_sub_f32_e32 v49, v16, v18
	v_add_f32_e32 v3, v50, v18
	v_dual_sub_f32 v53, v20, v22 :: v_dual_add_f32 v48, v30, v15
	v_fma_f32 v58, -0.5, v64, v58
	v_add_f32_e32 v16, v16, v18
	v_fma_f32 v11, -0.5, v70, v11
	v_sub_f32_e32 v30, v30, v15
	v_fma_f32 v15, -0.5, v52, v56
	v_add_f32_e32 v54, v57, v20
	v_add_f32_e32 v20, v20, v22
	v_fma_f32 v62, -0.5, v29, v62
	v_sub_f32_e32 v77, v25, v27
	v_add_f32_e32 v19, v21, v27
	v_fmamk_f32 v25, v53, 0x3f5db3d7, v15
	v_fma_f32 v68, -0.5, v48, v68
	v_fmamk_f32 v27, v65, 0x3f5db3d7, v58
	v_fmac_f32_e32 v69, -0.5, v16
	v_fma_f32 v16, -0.5, v20, v57
	v_fmac_f32_e32 v12, -0.5, v76
	v_dual_fmamk_f32 v21, v31, 0x3f5db3d7, v62 :: v_dual_add_f32 v0, v14, v0
	v_fmac_f32_e32 v15, 0xbf5db3d7, v53
	v_fmamk_f32 v29, v71, 0x3f5db3d7, v11
	v_dual_fmac_f32 v11, 0xbf5db3d7, v71 :: v_dual_add_f32 v14, v54, v22
	v_fmamk_f32 v22, v34, 0xbf5db3d7, v63
	v_fmac_f32_e32 v62, 0xbf5db3d7, v31
	v_fmac_f32_e32 v63, 0x3f5db3d7, v34
	v_add_f32_e32 v17, v17, v23
	v_fmamk_f32 v23, v49, 0x3f5db3d7, v68
	v_fmamk_f32 v24, v30, 0xbf5db3d7, v69
	v_fmac_f32_e32 v68, 0xbf5db3d7, v49
	v_fmac_f32_e32 v69, 0x3f5db3d7, v30
	v_add_f32_e32 v18, v66, v26
	v_fmamk_f32 v26, v55, 0xbf5db3d7, v16
	v_fmac_f32_e32 v16, 0x3f5db3d7, v55
	v_add_f32_e32 v20, v75, v28
	v_fmac_f32_e32 v58, 0xbf5db3d7, v65
	v_fmamk_f32 v28, v67, 0xbf5db3d7, v59
	v_fmac_f32_e32 v59, 0x3f5db3d7, v67
	v_fmamk_f32 v30, v77, 0xbf5db3d7, v12
	v_fmac_f32_e32 v12, 0x3f5db3d7, v77
	ds_store_2addr_b64 v37, v[0:1], v[21:22] offset1:50
	ds_store_b64 v37, v[62:63] offset:800
	ds_store_2addr_b64 v35, v[2:3], v[23:24] offset1:50
	ds_store_b64 v35, v[68:69] offset:800
	ds_store_2addr_b64 v37, v[13:14], v[25:26] offset0:160 offset1:210
	ds_store_b64 v37, v[15:16] offset:2080
	ds_store_2addr_b64 v73, v[17:18], v[27:28] offset1:50
	ds_store_b64 v73, v[58:59] offset:800
	ds_store_2addr_b64 v74, v[19:20], v[29:30] offset0:44 offset1:94
	ds_store_b64 v72, v[11:12] offset:3200
	v_lshlrev_b64_e32 v[15:16], 3, v[4:5]
	global_wb scope:SCOPE_SE
	s_wait_dscnt 0x0
	s_barrier_signal -1
	s_barrier_wait -1
	global_inv scope:SCOPE_SE
	s_clause 0x2
	global_load_b128 v[0:3], v[8:9], off offset:1120
	global_load_b128 v[6:9], v[6:7], off offset:1120
	;; [unrolled: 1-line block ×3, first 2 shown]
	v_add_co_u32 v17, s1, s4, v60
	s_wait_alu 0xf1ff
	v_add_co_ci_u32_e64 v18, s1, s5, v61, s1
	v_add_co_u32 v19, s1, s4, v15
	s_wait_alu 0xf1ff
	v_add_co_ci_u32_e64 v20, s1, s5, v16, s1
	s_clause 0x1
	global_load_b128 v[15:18], v[17:18], off offset:1120
	global_load_b128 v[19:22], v[19:20], off offset:1120
	ds_load_2addr_b64 v[23:26], v37 offset0:120 offset1:150
	ds_load_2addr_b64 v[27:30], v46 offset0:44 offset1:74
	ds_load_b64 v[41:42], v37 offset:1440
	ds_load_2addr_b32 v[55:56], v47 offset0:164 offset1:165
	ds_load_2addr_b64 v[31:34], v46 offset0:104 offset1:134
	ds_load_b64 v[57:58], v43
	ds_load_2addr_b64 v[47:50], v47 offset0:112 offset1:142
	ds_load_2addr_b64 v[51:54], v37 offset0:60 offset1:90
	ds_load_b64 v[59:60], v10
	ds_load_b64 v[61:62], v37 offset:3360
	global_wb scope:SCOPE_SE
	s_wait_loadcnt_dscnt 0x0
	s_barrier_signal -1
	s_barrier_wait -1
	global_inv scope:SCOPE_SE
	v_mul_f32_e32 v35, v3, v28
	v_mul_f32_e32 v63, v7, v42
	v_dual_mul_f32 v7, v7, v41 :: v_dual_mul_f32 v64, v9, v30
	v_dual_mul_f32 v9, v9, v29 :: v_dual_mul_f32 v66, v32, v14
	v_mul_f32_e32 v14, v31, v14
	s_delay_alu instid0(VALU_DEP_3) | instskip(SKIP_1) | instid1(VALU_DEP_4)
	v_fmac_f32_e32 v7, v6, v42
	v_mul_f32_e32 v3, v3, v27
	v_fmac_f32_e32 v9, v8, v30
	v_mul_f32_e32 v65, v56, v12
	;; [unrolled: 2-line block ×3, first 2 shown]
	v_add_f32_e32 v32, v60, v7
	v_mul_f32_e32 v16, v47, v16
	v_dual_mul_f32 v12, v12, v55 :: v_dual_fmac_f32 v3, v2, v28
	s_delay_alu instid0(VALU_DEP_2) | instskip(SKIP_2) | instid1(VALU_DEP_2)
	v_dual_mul_f32 v69, v50, v20 :: v_dual_fmac_f32 v16, v48, v15
	v_mul_f32_e32 v4, v1, v26
	v_mul_f32_e32 v1, v1, v25
	v_fma_f32 v4, v0, v25, -v4
	s_delay_alu instid0(VALU_DEP_2)
	v_fmac_f32_e32 v1, v0, v26
	v_fma_f32 v0, v2, v27, -v35
	v_fma_f32 v2, v6, v41, -v63
	v_fma_f32 v6, v8, v29, -v64
	v_fma_f32 v8, v11, v55, -v65
	v_sub_f32_e32 v26, v1, v3
	v_fmac_f32_e32 v12, v56, v11
	v_fma_f32 v11, v31, v13, -v66
	v_fma_f32 v13, v47, v15, -v67
	v_add_f32_e32 v27, v58, v1
	v_add_f32_e32 v30, v2, v6
	v_dual_add_f32 v28, v1, v3 :: v_dual_add_f32 v29, v59, v2
	s_delay_alu instid0(VALU_DEP_4) | instskip(SKIP_3) | instid1(VALU_DEP_3)
	v_add_f32_e32 v48, v53, v13
	v_dual_mul_f32 v20, v49, v20 :: v_dual_sub_f32 v31, v7, v9
	v_add_f32_e32 v1, v27, v3
	v_fma_f32 v59, -0.5, v30, v59
	v_dual_add_f32 v25, v4, v0 :: v_dual_fmac_f32 v20, v50, v19
	v_mul_f32_e32 v68, v34, v18
	v_dual_mul_f32 v18, v33, v18 :: v_dual_add_f32 v35, v8, v11
	v_sub_f32_e32 v47, v8, v11
	s_delay_alu instid0(VALU_DEP_4) | instskip(NEXT) | instid1(VALU_DEP_4)
	v_add_f32_e32 v63, v24, v20
	v_fma_f32 v15, v33, v17, -v68
	s_delay_alu instid0(VALU_DEP_4) | instskip(SKIP_4) | instid1(VALU_DEP_4)
	v_fmac_f32_e32 v18, v34, v17
	v_fma_f32 v17, v49, v19, -v69
	v_add_f32_e32 v34, v51, v8
	v_fma_f32 v8, -0.5, v35, v51
	v_add_f32_e32 v49, v13, v15
	v_dual_sub_f32 v56, v13, v15 :: v_dual_add_f32 v13, v23, v17
	v_mul_f32_e32 v70, v62, v22
	v_mul_f32_e32 v22, v61, v22
	s_delay_alu instid0(VALU_DEP_4)
	v_fma_f32 v53, -0.5, v49, v53
	v_add_f32_e32 v7, v7, v9
	v_sub_f32_e32 v33, v2, v6
	v_fma_f32 v19, v61, v21, -v70
	v_dual_fmac_f32 v22, v62, v21 :: v_dual_add_f32 v21, v57, v4
	v_sub_f32_e32 v4, v4, v0
	v_fma_f32 v57, -0.5, v25, v57
	s_delay_alu instid0(VALU_DEP_4) | instskip(SKIP_3) | instid1(VALU_DEP_4)
	v_add_f32_e32 v61, v17, v19
	v_dual_sub_f32 v64, v17, v19 :: v_dual_fmamk_f32 v17, v31, 0x3f5db3d7, v59
	v_dual_fmac_f32 v59, 0xbf5db3d7, v31 :: v_dual_sub_f32 v50, v16, v18
	v_add_f32_e32 v0, v21, v0
	v_fma_f32 v23, -0.5, v61, v23
	v_add_f32_e32 v2, v29, v6
	v_add_f32_e32 v6, v34, v11
	v_fmamk_f32 v21, v50, 0x3f5db3d7, v53
	v_fmac_f32_e32 v53, 0xbf5db3d7, v50
	v_dual_sub_f32 v62, v20, v22 :: v_dual_add_f32 v55, v54, v16
	v_add_f32_e32 v16, v16, v18
	v_add_f32_e32 v20, v20, v22
	;; [unrolled: 1-line block ×3, first 2 shown]
	s_delay_alu instid0(VALU_DEP_4)
	v_fmamk_f32 v25, v62, 0x3f5db3d7, v23
	v_fmamk_f32 v15, v26, 0x3f5db3d7, v57
	v_fmac_f32_e32 v57, 0xbf5db3d7, v26
	v_sub_f32_e32 v41, v12, v14
	v_add_f32_e32 v42, v52, v12
	v_add_f32_e32 v12, v12, v14
	v_dual_fmac_f32 v23, 0xbf5db3d7, v62 :: v_dual_fmac_f32 v58, -0.5, v28
	v_dual_fmac_f32 v60, -0.5, v7 :: v_dual_add_f32 v3, v32, v9
	s_delay_alu instid0(VALU_DEP_3)
	v_fma_f32 v9, -0.5, v12, v52
	v_fmac_f32_e32 v54, -0.5, v16
	v_dual_fmac_f32 v24, -0.5, v20 :: v_dual_add_f32 v13, v13, v19
	v_fmamk_f32 v19, v41, 0x3f5db3d7, v8
	v_fmamk_f32 v16, v4, 0xbf5db3d7, v58
	v_fmac_f32_e32 v58, 0x3f5db3d7, v4
	v_add_f32_e32 v12, v55, v18
	v_fmamk_f32 v18, v33, 0xbf5db3d7, v60
	v_dual_fmac_f32 v60, 0x3f5db3d7, v33 :: v_dual_add_f32 v7, v42, v14
	v_fmac_f32_e32 v8, 0xbf5db3d7, v41
	v_fmamk_f32 v20, v47, 0xbf5db3d7, v9
	v_dual_fmac_f32 v9, 0x3f5db3d7, v47 :: v_dual_add_f32 v14, v63, v22
	v_fmamk_f32 v22, v56, 0xbf5db3d7, v54
	v_fmac_f32_e32 v54, 0x3f5db3d7, v56
	v_fmamk_f32 v26, v64, 0xbf5db3d7, v24
	v_fmac_f32_e32 v24, 0x3f5db3d7, v64
	ds_store_b64 v37, v[0:1]
	ds_store_b64 v37, v[15:16] offset:1200
	ds_store_b64 v37, v[57:58] offset:2400
	ds_store_2addr_b64 v10, v[2:3], v[17:18] offset1:150
	ds_store_b64 v10, v[59:60] offset:2400
	ds_store_2addr_b64 v37, v[6:7], v[11:12] offset0:60 offset1:90
	ds_store_2addr_b64 v37, v[19:20], v[21:22] offset0:210 offset1:240
	;; [unrolled: 1-line block ×3, first 2 shown]
	ds_store_b64 v37, v[13:14] offset:960
	ds_store_b64 v37, v[25:26] offset:2160
	;; [unrolled: 1-line block ×3, first 2 shown]
	global_wb scope:SCOPE_SE
	s_wait_dscnt 0x0
	s_barrier_signal -1
	s_barrier_wait -1
	global_inv scope:SCOPE_SE
	ds_load_b64 v[2:3], v43
	v_sub_nc_u32_e32 v4, v44, v45
                                        ; implicit-def: $vgpr6
                                        ; implicit-def: $vgpr7
                                        ; implicit-def: $vgpr0_vgpr1
	v_cmpx_ne_u32_e32 0, v36
	s_wait_alu 0xfffe
	s_xor_b32 s2, exec_lo, s2
	s_cbranch_execz .LBB0_17
; %bb.16:
	v_mov_b32_e32 v37, v5
	ds_load_b64 v[5:6], v4 offset:3600
	s_wait_dscnt 0x0
	v_add_f32_e32 v8, v6, v3
	v_lshlrev_b64_e32 v[0:1], 3, v[36:37]
	v_dual_sub_f32 v7, v2, v5 :: v_dual_add_f32 v2, v5, v2
	v_sub_f32_e32 v3, v3, v6
	s_delay_alu instid0(VALU_DEP_4) | instskip(NEXT) | instid1(VALU_DEP_4)
	v_mul_f32_e32 v5, 0.5, v8
	v_add_co_u32 v0, s1, s4, v0
	s_wait_alu 0xf1ff
	v_add_co_ci_u32_e64 v1, s1, s5, v1, s1
	v_mul_f32_e32 v6, 0.5, v7
	v_mul_f32_e32 v3, 0.5, v3
	global_load_b64 v[0:1], v[0:1], off offset:3520
	s_wait_loadcnt 0x0
	v_mul_f32_e32 v7, v1, v6
	v_fma_f32 v8, v5, v1, v3
	v_fma_f32 v1, v5, v1, -v3
	s_delay_alu instid0(VALU_DEP_3) | instskip(SKIP_1) | instid1(VALU_DEP_4)
	v_fma_f32 v9, 0.5, v2, v7
	v_fma_f32 v2, v2, 0.5, -v7
	v_fma_f32 v7, -v0, v6, v8
	s_delay_alu instid0(VALU_DEP_4) | instskip(NEXT) | instid1(VALU_DEP_4)
	v_fma_f32 v6, -v0, v6, v1
	v_fmac_f32_e32 v9, v0, v5
	s_delay_alu instid0(VALU_DEP_4)
	v_fma_f32 v5, -v0, v5, v2
	v_dual_mov_b32 v0, v36 :: v_dual_mov_b32 v1, v37
                                        ; implicit-def: $vgpr2_vgpr3
	ds_store_b32 v43, v9
.LBB0_17:
	s_wait_alu 0xfffe
	s_and_not1_saveexec_b32 s1, s2
	s_cbranch_execz .LBB0_19
; %bb.18:
	ds_load_b32 v0, v44 offset:1804
	s_wait_dscnt 0x1
	v_dual_mov_b32 v7, 0 :: v_dual_add_f32 v8, v2, v3
	s_delay_alu instid0(VALU_DEP_1)
	v_dual_sub_f32 v5, v2, v3 :: v_dual_mov_b32 v6, v7
	s_wait_dscnt 0x0
	v_xor_b32_e32 v2, 0x80000000, v0
	v_mov_b32_e32 v0, 0
	v_mov_b32_e32 v1, 0
	ds_store_b32 v43, v8
	ds_store_b32 v44, v2 offset:1804
.LBB0_19:
	s_wait_alu 0xfffe
	s_or_b32 exec_lo, exec_lo, s1
	v_mov_b32_e32 v41, 0
	v_lshlrev_b64_e32 v[0:1], 3, v[0:1]
	s_add_nc_u64 s[2:3], s[4:5], 0xdc0
	v_lshl_add_u32 v22, v40, 3, v44
	s_wait_dscnt 0x0
	v_lshlrev_b64_e32 v[2:3], 3, v[40:41]
	s_delay_alu instid0(VALU_DEP_1) | instskip(SKIP_1) | instid1(VALU_DEP_2)
	v_add_co_u32 v2, s1, s4, v2
	s_wait_alu 0xf1ff
	v_add_co_ci_u32_e64 v3, s1, s5, v3, s1
	global_load_b64 v[8:9], v[2:3], off offset:3520
	s_wait_alu 0xfffe
	v_add_co_u32 v2, s1, s2, v0
	s_wait_alu 0xf1ff
	v_add_co_ci_u32_e64 v3, s1, s3, v1, s1
	s_clause 0x4
	global_load_b64 v[10:11], v[2:3], off offset:480
	global_load_b64 v[12:13], v[2:3], off offset:720
	;; [unrolled: 1-line block ×5, first 2 shown]
	ds_store_b32 v43, v7 offset:4
	ds_store_b64 v4, v[5:6] offset:3600
	ds_load_b64 v[5:6], v4 offset:3360
	ds_load_b64 v[20:21], v22
	s_wait_dscnt 0x0
	v_add_f32_e32 v23, v21, v6
	v_dual_sub_f32 v6, v21, v6 :: v_dual_sub_f32 v7, v20, v5
	s_delay_alu instid0(VALU_DEP_2) | instskip(NEXT) | instid1(VALU_DEP_2)
	v_dual_add_f32 v20, v20, v5 :: v_dual_mul_f32 v21, 0.5, v23
	v_dual_mul_f32 v6, 0.5, v6 :: v_dual_mul_f32 v7, 0.5, v7
	s_wait_loadcnt 0x5
	s_delay_alu instid0(VALU_DEP_1) | instskip(NEXT) | instid1(VALU_DEP_2)
	v_mul_f32_e32 v23, v9, v7
	v_fma_f32 v24, v21, v9, v6
	v_fma_f32 v9, v21, v9, -v6
	s_delay_alu instid0(VALU_DEP_3) | instskip(SKIP_1) | instid1(VALU_DEP_4)
	v_fma_f32 v5, 0.5, v20, v23
	v_fma_f32 v20, v20, 0.5, -v23
	v_fma_f32 v6, -v8, v7, v24
	s_delay_alu instid0(VALU_DEP_4) | instskip(NEXT) | instid1(VALU_DEP_4)
	v_fma_f32 v9, -v8, v7, v9
	v_fmac_f32_e32 v5, v8, v21
	s_delay_alu instid0(VALU_DEP_4)
	v_fma_f32 v8, -v8, v21, v20
	ds_store_b64 v22, v[5:6]
	ds_store_b64 v4, v[8:9] offset:3360
	ds_load_b64 v[5:6], v43 offset:480
	ds_load_b64 v[7:8], v4 offset:3120
	s_wait_dscnt 0x0
	v_dual_sub_f32 v9, v5, v7 :: v_dual_add_f32 v20, v6, v8
	v_dual_sub_f32 v6, v6, v8 :: v_dual_add_f32 v7, v5, v7
	s_delay_alu instid0(VALU_DEP_2) | instskip(NEXT) | instid1(VALU_DEP_2)
	v_dual_mul_f32 v8, 0.5, v9 :: v_dual_mul_f32 v9, 0.5, v20
	v_mul_f32_e32 v6, 0.5, v6
	s_wait_loadcnt 0x4
	s_delay_alu instid0(VALU_DEP_2) | instskip(NEXT) | instid1(VALU_DEP_2)
	v_mul_f32_e32 v20, v11, v8
	v_fma_f32 v21, v9, v11, v6
	v_fma_f32 v11, v9, v11, -v6
	s_delay_alu instid0(VALU_DEP_3) | instskip(SKIP_1) | instid1(VALU_DEP_4)
	v_fma_f32 v5, 0.5, v7, v20
	v_fma_f32 v7, v7, 0.5, -v20
	v_fma_f32 v6, -v10, v8, v21
	s_delay_alu instid0(VALU_DEP_4) | instskip(NEXT) | instid1(VALU_DEP_4)
	v_fma_f32 v8, -v10, v8, v11
	v_fmac_f32_e32 v5, v10, v9
	s_delay_alu instid0(VALU_DEP_4)
	v_fma_f32 v7, -v10, v9, v7
	ds_store_b64 v43, v[5:6] offset:480
	ds_store_b64 v4, v[7:8] offset:3120
	ds_load_b64 v[5:6], v43 offset:720
	ds_load_b64 v[7:8], v4 offset:2880
	s_wait_dscnt 0x0
	v_dual_sub_f32 v9, v5, v7 :: v_dual_add_f32 v10, v6, v8
	v_dual_sub_f32 v6, v6, v8 :: v_dual_add_f32 v7, v5, v7
	s_delay_alu instid0(VALU_DEP_2) | instskip(NEXT) | instid1(VALU_DEP_2)
	v_dual_mul_f32 v8, 0.5, v9 :: v_dual_mul_f32 v9, 0.5, v10
	v_mul_f32_e32 v6, 0.5, v6
	s_wait_loadcnt 0x3
	s_delay_alu instid0(VALU_DEP_2) | instskip(NEXT) | instid1(VALU_DEP_2)
	v_mul_f32_e32 v10, v13, v8
	v_fma_f32 v11, v9, v13, v6
	v_fma_f32 v13, v9, v13, -v6
	s_delay_alu instid0(VALU_DEP_3) | instskip(SKIP_1) | instid1(VALU_DEP_4)
	v_fma_f32 v5, 0.5, v7, v10
	v_fma_f32 v7, v7, 0.5, -v10
	v_fma_f32 v6, -v12, v8, v11
	s_delay_alu instid0(VALU_DEP_4) | instskip(NEXT) | instid1(VALU_DEP_4)
	v_fma_f32 v8, -v12, v8, v13
	v_fmac_f32_e32 v5, v12, v9
	s_delay_alu instid0(VALU_DEP_4)
	v_fma_f32 v7, -v12, v9, v7
	ds_store_b64 v43, v[5:6] offset:720
	ds_store_b64 v4, v[7:8] offset:2880
	ds_load_b64 v[5:6], v43 offset:960
	ds_load_b64 v[7:8], v4 offset:2640
	s_wait_dscnt 0x0
	v_add_f32_e32 v10, v6, v8
	v_dual_sub_f32 v6, v6, v8 :: v_dual_sub_f32 v9, v5, v7
	s_delay_alu instid0(VALU_DEP_1) | instskip(NEXT) | instid1(VALU_DEP_2)
	v_mul_f32_e32 v6, 0.5, v6
	v_dual_mul_f32 v8, 0.5, v9 :: v_dual_mul_f32 v9, 0.5, v10
	s_wait_loadcnt 0x2
	s_delay_alu instid0(VALU_DEP_1) | instskip(NEXT) | instid1(VALU_DEP_2)
	v_dual_add_f32 v7, v5, v7 :: v_dual_mul_f32 v10, v15, v8
	v_fma_f32 v11, v9, v15, v6
	v_fma_f32 v12, v9, v15, -v6
	s_delay_alu instid0(VALU_DEP_3) | instskip(SKIP_1) | instid1(VALU_DEP_4)
	v_fma_f32 v5, 0.5, v7, v10
	v_fma_f32 v7, v7, 0.5, -v10
	v_fma_f32 v6, -v14, v8, v11
	s_delay_alu instid0(VALU_DEP_4) | instskip(NEXT) | instid1(VALU_DEP_4)
	v_fma_f32 v8, -v14, v8, v12
	v_fmac_f32_e32 v5, v14, v9
	s_delay_alu instid0(VALU_DEP_4)
	v_fma_f32 v7, -v14, v9, v7
	ds_store_b64 v43, v[5:6] offset:960
	ds_store_b64 v4, v[7:8] offset:2640
	ds_load_b64 v[5:6], v43 offset:1200
	ds_load_b64 v[7:8], v4 offset:2400
	s_wait_dscnt 0x0
	v_dual_sub_f32 v9, v5, v7 :: v_dual_add_f32 v10, v6, v8
	v_dual_sub_f32 v6, v6, v8 :: v_dual_add_f32 v7, v5, v7
	s_delay_alu instid0(VALU_DEP_2) | instskip(NEXT) | instid1(VALU_DEP_2)
	v_dual_mul_f32 v8, 0.5, v9 :: v_dual_mul_f32 v9, 0.5, v10
	v_mul_f32_e32 v6, 0.5, v6
	s_wait_loadcnt 0x1
	s_delay_alu instid0(VALU_DEP_2) | instskip(NEXT) | instid1(VALU_DEP_2)
	v_mul_f32_e32 v10, v17, v8
	v_fma_f32 v11, v9, v17, v6
	v_fma_f32 v12, v9, v17, -v6
	s_delay_alu instid0(VALU_DEP_3) | instskip(NEXT) | instid1(VALU_DEP_3)
	v_fma_f32 v5, 0.5, v7, v10
	v_fma_f32 v6, -v16, v8, v11
	s_delay_alu instid0(VALU_DEP_3) | instskip(NEXT) | instid1(VALU_DEP_3)
	v_fma_f32 v8, -v16, v8, v12
	v_fmac_f32_e32 v5, v16, v9
	v_fma_f32 v7, v7, 0.5, -v10
	s_delay_alu instid0(VALU_DEP_1)
	v_fma_f32 v7, -v16, v9, v7
	ds_store_b64 v43, v[5:6] offset:1200
	ds_store_b64 v4, v[7:8] offset:2400
	ds_load_b64 v[5:6], v43 offset:1440
	ds_load_b64 v[7:8], v4 offset:2160
	s_wait_dscnt 0x0
	v_dual_sub_f32 v9, v5, v7 :: v_dual_add_f32 v10, v6, v8
	v_dual_sub_f32 v6, v6, v8 :: v_dual_add_f32 v7, v5, v7
	s_delay_alu instid0(VALU_DEP_2) | instskip(SKIP_1) | instid1(VALU_DEP_1)
	v_dual_mul_f32 v8, 0.5, v9 :: v_dual_mul_f32 v9, 0.5, v10
	s_wait_loadcnt 0x0
	v_mul_f32_e32 v10, v19, v8
	s_delay_alu instid0(VALU_DEP_1) | instskip(SKIP_2) | instid1(VALU_DEP_3)
	v_fma_f32 v5, 0.5, v7, v10
	v_mul_f32_e32 v6, 0.5, v6
	v_fma_f32 v7, v7, 0.5, -v10
	v_fmac_f32_e32 v5, v18, v9
	s_delay_alu instid0(VALU_DEP_3) | instskip(SKIP_1) | instid1(VALU_DEP_4)
	v_fma_f32 v11, v9, v19, v6
	v_fma_f32 v12, v9, v19, -v6
	v_fma_f32 v7, -v18, v9, v7
	s_delay_alu instid0(VALU_DEP_3) | instskip(NEXT) | instid1(VALU_DEP_3)
	v_fma_f32 v6, -v18, v8, v11
	v_fma_f32 v8, -v18, v8, v12
	ds_store_b64 v43, v[5:6] offset:1440
	ds_store_b64 v4, v[7:8] offset:2160
	s_and_saveexec_b32 s1, s0
	s_cbranch_execz .LBB0_21
; %bb.20:
	global_load_b64 v[2:3], v[2:3], off offset:1680
	ds_load_b64 v[5:6], v43 offset:1680
	ds_load_b64 v[7:8], v4 offset:1920
	s_wait_dscnt 0x0
	v_dual_sub_f32 v9, v5, v7 :: v_dual_add_f32 v10, v6, v8
	v_dual_sub_f32 v6, v6, v8 :: v_dual_add_f32 v7, v5, v7
	s_delay_alu instid0(VALU_DEP_2) | instskip(SKIP_1) | instid1(VALU_DEP_1)
	v_dual_mul_f32 v8, 0.5, v9 :: v_dual_mul_f32 v9, 0.5, v10
	s_wait_loadcnt 0x0
	v_mul_f32_e32 v10, v3, v8
	s_delay_alu instid0(VALU_DEP_1) | instskip(SKIP_2) | instid1(VALU_DEP_3)
	v_fma_f32 v5, 0.5, v7, v10
	v_mul_f32_e32 v6, 0.5, v6
	v_fma_f32 v7, v7, 0.5, -v10
	v_fmac_f32_e32 v5, v2, v9
	s_delay_alu instid0(VALU_DEP_3) | instskip(SKIP_1) | instid1(VALU_DEP_2)
	v_fma_f32 v11, v9, v3, v6
	v_fma_f32 v3, v9, v3, -v6
	v_fma_f32 v6, -v2, v8, v11
	s_delay_alu instid0(VALU_DEP_2)
	v_fma_f32 v3, -v2, v8, v3
	v_fma_f32 v2, -v2, v9, v7
	ds_store_b64 v43, v[5:6] offset:1680
	ds_store_b64 v4, v[2:3] offset:1920
.LBB0_21:
	s_wait_alu 0xfffe
	s_or_b32 exec_lo, exec_lo, s1
	global_wb scope:SCOPE_SE
	s_wait_dscnt 0x0
	s_barrier_signal -1
	s_barrier_wait -1
	global_inv scope:SCOPE_SE
	s_and_saveexec_b32 s0, vcc_lo
	s_cbranch_execz .LBB0_24
; %bb.22:
	v_add_nc_u32_e32 v20, 0x400, v43
	v_add_nc_u32_e32 v28, 0x800, v43
	ds_load_2addr_b64 v[4:7], v43 offset1:30
	ds_load_2addr_b64 v[8:11], v43 offset0:60 offset1:90
	ds_load_2addr_b64 v[12:15], v43 offset0:120 offset1:150
	;; [unrolled: 1-line block ×3, first 2 shown]
	v_add_co_u32 v2, vcc_lo, s8, v38
	ds_load_2addr_b64 v[20:23], v20 offset0:112 offset1:142
	ds_load_2addr_b64 v[24:27], v28 offset0:44 offset1:74
	;; [unrolled: 1-line block ×3, first 2 shown]
	ds_load_b64 v[32:33], v43 offset:3360
	s_wait_alu 0xfffd
	v_add_co_ci_u32_e32 v3, vcc_lo, s9, v39, vcc_lo
	v_add_co_u32 v0, vcc_lo, v2, v0
	s_wait_alu 0xfffd
	s_delay_alu instid0(VALU_DEP_2)
	v_add_co_ci_u32_e32 v1, vcc_lo, v3, v1, vcc_lo
	v_cmp_eq_u32_e32 vcc_lo, 29, v36
	s_wait_dscnt 0x7
	s_clause 0x1
	global_store_b64 v[0:1], v[4:5], off
	global_store_b64 v[0:1], v[6:7], off offset:240
	s_wait_dscnt 0x6
	s_clause 0x1
	global_store_b64 v[0:1], v[8:9], off offset:480
	global_store_b64 v[0:1], v[10:11], off offset:720
	s_wait_dscnt 0x5
	s_clause 0x1
	global_store_b64 v[0:1], v[12:13], off offset:960
	global_store_b64 v[0:1], v[14:15], off offset:1200
	s_wait_dscnt 0x4
	s_clause 0x1
	global_store_b64 v[0:1], v[16:17], off offset:1440
	global_store_b64 v[0:1], v[18:19], off offset:1680
	s_wait_dscnt 0x3
	s_clause 0x1
	global_store_b64 v[0:1], v[20:21], off offset:1920
	global_store_b64 v[0:1], v[22:23], off offset:2160
	s_wait_dscnt 0x2
	s_clause 0x1
	global_store_b64 v[0:1], v[24:25], off offset:2400
	global_store_b64 v[0:1], v[26:27], off offset:2640
	s_wait_dscnt 0x1
	s_clause 0x1
	global_store_b64 v[0:1], v[28:29], off offset:2880
	global_store_b64 v[0:1], v[30:31], off offset:3120
	s_wait_dscnt 0x0
	global_store_b64 v[0:1], v[32:33], off offset:3360
	s_and_b32 exec_lo, exec_lo, vcc_lo
	s_cbranch_execz .LBB0_24
; %bb.23:
	ds_load_b64 v[0:1], v43 offset:3368
	s_wait_dscnt 0x0
	global_store_b64 v[2:3], v[0:1], off offset:3600
.LBB0_24:
	s_nop 0
	s_sendmsg sendmsg(MSG_DEALLOC_VGPRS)
	s_endpgm
	.section	.rodata,"a",@progbits
	.p2align	6, 0x0
	.amdhsa_kernel fft_rtc_fwd_len450_factors_10_5_3_3_wgs_120_tpt_30_halfLds_sp_ip_CI_unitstride_sbrr_R2C_dirReg
		.amdhsa_group_segment_fixed_size 0
		.amdhsa_private_segment_fixed_size 0
		.amdhsa_kernarg_size 88
		.amdhsa_user_sgpr_count 2
		.amdhsa_user_sgpr_dispatch_ptr 0
		.amdhsa_user_sgpr_queue_ptr 0
		.amdhsa_user_sgpr_kernarg_segment_ptr 1
		.amdhsa_user_sgpr_dispatch_id 0
		.amdhsa_user_sgpr_private_segment_size 0
		.amdhsa_wavefront_size32 1
		.amdhsa_uses_dynamic_stack 0
		.amdhsa_enable_private_segment 0
		.amdhsa_system_sgpr_workgroup_id_x 1
		.amdhsa_system_sgpr_workgroup_id_y 0
		.amdhsa_system_sgpr_workgroup_id_z 0
		.amdhsa_system_sgpr_workgroup_info 0
		.amdhsa_system_vgpr_workitem_id 0
		.amdhsa_next_free_vgpr 97
		.amdhsa_next_free_sgpr 32
		.amdhsa_reserve_vcc 1
		.amdhsa_float_round_mode_32 0
		.amdhsa_float_round_mode_16_64 0
		.amdhsa_float_denorm_mode_32 3
		.amdhsa_float_denorm_mode_16_64 3
		.amdhsa_fp16_overflow 0
		.amdhsa_workgroup_processor_mode 1
		.amdhsa_memory_ordered 1
		.amdhsa_forward_progress 0
		.amdhsa_round_robin_scheduling 0
		.amdhsa_exception_fp_ieee_invalid_op 0
		.amdhsa_exception_fp_denorm_src 0
		.amdhsa_exception_fp_ieee_div_zero 0
		.amdhsa_exception_fp_ieee_overflow 0
		.amdhsa_exception_fp_ieee_underflow 0
		.amdhsa_exception_fp_ieee_inexact 0
		.amdhsa_exception_int_div_zero 0
	.end_amdhsa_kernel
	.text
.Lfunc_end0:
	.size	fft_rtc_fwd_len450_factors_10_5_3_3_wgs_120_tpt_30_halfLds_sp_ip_CI_unitstride_sbrr_R2C_dirReg, .Lfunc_end0-fft_rtc_fwd_len450_factors_10_5_3_3_wgs_120_tpt_30_halfLds_sp_ip_CI_unitstride_sbrr_R2C_dirReg
                                        ; -- End function
	.section	.AMDGPU.csdata,"",@progbits
; Kernel info:
; codeLenInByte = 10088
; NumSgprs: 34
; NumVgprs: 97
; ScratchSize: 0
; MemoryBound: 0
; FloatMode: 240
; IeeeMode: 1
; LDSByteSize: 0 bytes/workgroup (compile time only)
; SGPRBlocks: 4
; VGPRBlocks: 12
; NumSGPRsForWavesPerEU: 34
; NumVGPRsForWavesPerEU: 97
; Occupancy: 12
; WaveLimiterHint : 1
; COMPUTE_PGM_RSRC2:SCRATCH_EN: 0
; COMPUTE_PGM_RSRC2:USER_SGPR: 2
; COMPUTE_PGM_RSRC2:TRAP_HANDLER: 0
; COMPUTE_PGM_RSRC2:TGID_X_EN: 1
; COMPUTE_PGM_RSRC2:TGID_Y_EN: 0
; COMPUTE_PGM_RSRC2:TGID_Z_EN: 0
; COMPUTE_PGM_RSRC2:TIDIG_COMP_CNT: 0
	.text
	.p2alignl 7, 3214868480
	.fill 96, 4, 3214868480
	.type	__hip_cuid_d964a0a68edaf5ef,@object ; @__hip_cuid_d964a0a68edaf5ef
	.section	.bss,"aw",@nobits
	.globl	__hip_cuid_d964a0a68edaf5ef
__hip_cuid_d964a0a68edaf5ef:
	.byte	0                               ; 0x0
	.size	__hip_cuid_d964a0a68edaf5ef, 1

	.ident	"AMD clang version 19.0.0git (https://github.com/RadeonOpenCompute/llvm-project roc-6.4.0 25133 c7fe45cf4b819c5991fe208aaa96edf142730f1d)"
	.section	".note.GNU-stack","",@progbits
	.addrsig
	.addrsig_sym __hip_cuid_d964a0a68edaf5ef
	.amdgpu_metadata
---
amdhsa.kernels:
  - .args:
      - .actual_access:  read_only
        .address_space:  global
        .offset:         0
        .size:           8
        .value_kind:     global_buffer
      - .offset:         8
        .size:           8
        .value_kind:     by_value
      - .actual_access:  read_only
        .address_space:  global
        .offset:         16
        .size:           8
        .value_kind:     global_buffer
      - .actual_access:  read_only
        .address_space:  global
        .offset:         24
        .size:           8
        .value_kind:     global_buffer
      - .offset:         32
        .size:           8
        .value_kind:     by_value
      - .actual_access:  read_only
        .address_space:  global
        .offset:         40
        .size:           8
        .value_kind:     global_buffer
      - .actual_access:  read_only
        .address_space:  global
        .offset:         48
        .size:           8
        .value_kind:     global_buffer
      - .offset:         56
        .size:           4
        .value_kind:     by_value
      - .actual_access:  read_only
        .address_space:  global
        .offset:         64
        .size:           8
        .value_kind:     global_buffer
      - .actual_access:  read_only
        .address_space:  global
        .offset:         72
        .size:           8
        .value_kind:     global_buffer
      - .address_space:  global
        .offset:         80
        .size:           8
        .value_kind:     global_buffer
    .group_segment_fixed_size: 0
    .kernarg_segment_align: 8
    .kernarg_segment_size: 88
    .language:       OpenCL C
    .language_version:
      - 2
      - 0
    .max_flat_workgroup_size: 120
    .name:           fft_rtc_fwd_len450_factors_10_5_3_3_wgs_120_tpt_30_halfLds_sp_ip_CI_unitstride_sbrr_R2C_dirReg
    .private_segment_fixed_size: 0
    .sgpr_count:     34
    .sgpr_spill_count: 0
    .symbol:         fft_rtc_fwd_len450_factors_10_5_3_3_wgs_120_tpt_30_halfLds_sp_ip_CI_unitstride_sbrr_R2C_dirReg.kd
    .uniform_work_group_size: 1
    .uses_dynamic_stack: false
    .vgpr_count:     97
    .vgpr_spill_count: 0
    .wavefront_size: 32
    .workgroup_processor_mode: 1
amdhsa.target:   amdgcn-amd-amdhsa--gfx1201
amdhsa.version:
  - 1
  - 2
...

	.end_amdgpu_metadata
